;; amdgpu-corpus repo=ROCm/rocFFT kind=compiled arch=gfx1100 opt=O3
	.text
	.amdgcn_target "amdgcn-amd-amdhsa--gfx1100"
	.amdhsa_code_object_version 6
	.protected	fft_rtc_back_len1728_factors_3_6_6_16_wgs_108_tpt_108_halfLds_sp_op_CI_CI_sbrr_dirReg ; -- Begin function fft_rtc_back_len1728_factors_3_6_6_16_wgs_108_tpt_108_halfLds_sp_op_CI_CI_sbrr_dirReg
	.globl	fft_rtc_back_len1728_factors_3_6_6_16_wgs_108_tpt_108_halfLds_sp_op_CI_CI_sbrr_dirReg
	.p2align	8
	.type	fft_rtc_back_len1728_factors_3_6_6_16_wgs_108_tpt_108_halfLds_sp_op_CI_CI_sbrr_dirReg,@function
fft_rtc_back_len1728_factors_3_6_6_16_wgs_108_tpt_108_halfLds_sp_op_CI_CI_sbrr_dirReg: ; @fft_rtc_back_len1728_factors_3_6_6_16_wgs_108_tpt_108_halfLds_sp_op_CI_CI_sbrr_dirReg
; %bb.0:
	s_clause 0x2
	s_load_b128 s[16:19], s[0:1], 0x18
	s_load_b128 s[8:11], s[0:1], 0x0
	;; [unrolled: 1-line block ×3, first 2 shown]
	v_mul_u32_u24_e32 v1, 0x25f, v0
	v_mov_b32_e32 v20, 0
	v_mov_b32_e32 v21, 0
	s_waitcnt lgkmcnt(0)
	s_load_b64 s[20:21], s[16:17], 0x0
	s_load_b64 s[12:13], s[18:19], 0x0
	v_lshrrev_b32_e32 v2, 16, v1
	v_mov_b32_e32 v1, 0
	v_cmp_lt_u64_e64 s2, s[10:11], 2
	s_delay_alu instid0(VALU_DEP_2) | instskip(NEXT) | instid1(VALU_DEP_2)
	v_dual_mov_b32 v4, v1 :: v_dual_add_nc_u32 v3, s15, v2
	s_and_b32 vcc_lo, exec_lo, s2
	s_cbranch_vccnz .LBB0_8
; %bb.1:
	s_load_b64 s[2:3], s[0:1], 0x10
	v_mov_b32_e32 v20, 0
	v_mov_b32_e32 v21, 0
	s_add_u32 s14, s18, 8
	s_addc_u32 s15, s19, 0
	s_add_u32 s22, s16, 8
	s_addc_u32 s23, s17, 0
	v_dual_mov_b32 v29, v21 :: v_dual_mov_b32 v28, v20
	s_mov_b64 s[26:27], 1
	s_waitcnt lgkmcnt(0)
	s_add_u32 s24, s2, 8
	s_addc_u32 s25, s3, 0
.LBB0_2:                                ; =>This Inner Loop Header: Depth=1
	s_load_b64 s[28:29], s[24:25], 0x0
                                        ; implicit-def: $vgpr30_vgpr31
	s_mov_b32 s2, exec_lo
	s_waitcnt lgkmcnt(0)
	v_or_b32_e32 v2, s29, v4
	s_delay_alu instid0(VALU_DEP_1)
	v_cmpx_ne_u64_e32 0, v[1:2]
	s_xor_b32 s3, exec_lo, s2
	s_cbranch_execz .LBB0_4
; %bb.3:                                ;   in Loop: Header=BB0_2 Depth=1
	v_cvt_f32_u32_e32 v2, s28
	v_cvt_f32_u32_e32 v5, s29
	s_sub_u32 s2, 0, s28
	s_subb_u32 s30, 0, s29
	s_delay_alu instid0(VALU_DEP_1) | instskip(NEXT) | instid1(VALU_DEP_1)
	v_fmac_f32_e32 v2, 0x4f800000, v5
	v_rcp_f32_e32 v2, v2
	s_waitcnt_depctr 0xfff
	v_mul_f32_e32 v2, 0x5f7ffffc, v2
	s_delay_alu instid0(VALU_DEP_1) | instskip(NEXT) | instid1(VALU_DEP_1)
	v_mul_f32_e32 v5, 0x2f800000, v2
	v_trunc_f32_e32 v5, v5
	s_delay_alu instid0(VALU_DEP_1) | instskip(SKIP_1) | instid1(VALU_DEP_2)
	v_fmac_f32_e32 v2, 0xcf800000, v5
	v_cvt_u32_f32_e32 v5, v5
	v_cvt_u32_f32_e32 v2, v2
	s_delay_alu instid0(VALU_DEP_2) | instskip(NEXT) | instid1(VALU_DEP_2)
	v_mul_lo_u32 v6, s2, v5
	v_mul_hi_u32 v7, s2, v2
	v_mul_lo_u32 v8, s30, v2
	s_delay_alu instid0(VALU_DEP_2) | instskip(SKIP_1) | instid1(VALU_DEP_2)
	v_add_nc_u32_e32 v6, v7, v6
	v_mul_lo_u32 v7, s2, v2
	v_add_nc_u32_e32 v6, v6, v8
	s_delay_alu instid0(VALU_DEP_2) | instskip(NEXT) | instid1(VALU_DEP_2)
	v_mul_hi_u32 v8, v2, v7
	v_mul_lo_u32 v9, v2, v6
	v_mul_hi_u32 v10, v2, v6
	v_mul_hi_u32 v11, v5, v7
	v_mul_lo_u32 v7, v5, v7
	v_mul_hi_u32 v12, v5, v6
	v_mul_lo_u32 v6, v5, v6
	v_add_co_u32 v8, vcc_lo, v8, v9
	v_add_co_ci_u32_e32 v9, vcc_lo, 0, v10, vcc_lo
	s_delay_alu instid0(VALU_DEP_2) | instskip(NEXT) | instid1(VALU_DEP_2)
	v_add_co_u32 v7, vcc_lo, v8, v7
	v_add_co_ci_u32_e32 v7, vcc_lo, v9, v11, vcc_lo
	v_add_co_ci_u32_e32 v8, vcc_lo, 0, v12, vcc_lo
	s_delay_alu instid0(VALU_DEP_2) | instskip(NEXT) | instid1(VALU_DEP_2)
	v_add_co_u32 v6, vcc_lo, v7, v6
	v_add_co_ci_u32_e32 v7, vcc_lo, 0, v8, vcc_lo
	s_delay_alu instid0(VALU_DEP_2) | instskip(NEXT) | instid1(VALU_DEP_2)
	v_add_co_u32 v2, vcc_lo, v2, v6
	v_add_co_ci_u32_e32 v5, vcc_lo, v5, v7, vcc_lo
	s_delay_alu instid0(VALU_DEP_2) | instskip(SKIP_1) | instid1(VALU_DEP_3)
	v_mul_hi_u32 v6, s2, v2
	v_mul_lo_u32 v8, s30, v2
	v_mul_lo_u32 v7, s2, v5
	s_delay_alu instid0(VALU_DEP_1) | instskip(SKIP_1) | instid1(VALU_DEP_2)
	v_add_nc_u32_e32 v6, v6, v7
	v_mul_lo_u32 v7, s2, v2
	v_add_nc_u32_e32 v6, v6, v8
	s_delay_alu instid0(VALU_DEP_2) | instskip(NEXT) | instid1(VALU_DEP_2)
	v_mul_hi_u32 v8, v2, v7
	v_mul_lo_u32 v9, v2, v6
	v_mul_hi_u32 v10, v2, v6
	v_mul_hi_u32 v11, v5, v7
	v_mul_lo_u32 v7, v5, v7
	v_mul_hi_u32 v12, v5, v6
	v_mul_lo_u32 v6, v5, v6
	v_add_co_u32 v8, vcc_lo, v8, v9
	v_add_co_ci_u32_e32 v9, vcc_lo, 0, v10, vcc_lo
	s_delay_alu instid0(VALU_DEP_2) | instskip(NEXT) | instid1(VALU_DEP_2)
	v_add_co_u32 v7, vcc_lo, v8, v7
	v_add_co_ci_u32_e32 v7, vcc_lo, v9, v11, vcc_lo
	v_add_co_ci_u32_e32 v8, vcc_lo, 0, v12, vcc_lo
	s_delay_alu instid0(VALU_DEP_2) | instskip(NEXT) | instid1(VALU_DEP_2)
	v_add_co_u32 v6, vcc_lo, v7, v6
	v_add_co_ci_u32_e32 v7, vcc_lo, 0, v8, vcc_lo
	s_delay_alu instid0(VALU_DEP_2) | instskip(NEXT) | instid1(VALU_DEP_2)
	v_add_co_u32 v2, vcc_lo, v2, v6
	v_add_co_ci_u32_e32 v11, vcc_lo, v5, v7, vcc_lo
	s_delay_alu instid0(VALU_DEP_2) | instskip(SKIP_1) | instid1(VALU_DEP_3)
	v_mul_hi_u32 v12, v3, v2
	v_mad_u64_u32 v[7:8], null, v4, v2, 0
	v_mad_u64_u32 v[5:6], null, v3, v11, 0
	;; [unrolled: 1-line block ×3, first 2 shown]
	s_delay_alu instid0(VALU_DEP_2) | instskip(NEXT) | instid1(VALU_DEP_3)
	v_add_co_u32 v2, vcc_lo, v12, v5
	v_add_co_ci_u32_e32 v5, vcc_lo, 0, v6, vcc_lo
	s_delay_alu instid0(VALU_DEP_2) | instskip(NEXT) | instid1(VALU_DEP_2)
	v_add_co_u32 v2, vcc_lo, v2, v7
	v_add_co_ci_u32_e32 v2, vcc_lo, v5, v8, vcc_lo
	v_add_co_ci_u32_e32 v5, vcc_lo, 0, v10, vcc_lo
	s_delay_alu instid0(VALU_DEP_2) | instskip(NEXT) | instid1(VALU_DEP_2)
	v_add_co_u32 v2, vcc_lo, v2, v9
	v_add_co_ci_u32_e32 v7, vcc_lo, 0, v5, vcc_lo
	s_delay_alu instid0(VALU_DEP_2) | instskip(SKIP_1) | instid1(VALU_DEP_3)
	v_mul_lo_u32 v8, s29, v2
	v_mad_u64_u32 v[5:6], null, s28, v2, 0
	v_mul_lo_u32 v9, s28, v7
	s_delay_alu instid0(VALU_DEP_2) | instskip(NEXT) | instid1(VALU_DEP_2)
	v_sub_co_u32 v5, vcc_lo, v3, v5
	v_add3_u32 v6, v6, v9, v8
	s_delay_alu instid0(VALU_DEP_1) | instskip(NEXT) | instid1(VALU_DEP_1)
	v_sub_nc_u32_e32 v8, v4, v6
	v_subrev_co_ci_u32_e64 v8, s2, s29, v8, vcc_lo
	v_add_co_u32 v9, s2, v2, 2
	s_delay_alu instid0(VALU_DEP_1) | instskip(SKIP_3) | instid1(VALU_DEP_3)
	v_add_co_ci_u32_e64 v10, s2, 0, v7, s2
	v_sub_co_u32 v11, s2, v5, s28
	v_sub_co_ci_u32_e32 v6, vcc_lo, v4, v6, vcc_lo
	v_subrev_co_ci_u32_e64 v8, s2, 0, v8, s2
	v_cmp_le_u32_e32 vcc_lo, s28, v11
	s_delay_alu instid0(VALU_DEP_3) | instskip(SKIP_1) | instid1(VALU_DEP_4)
	v_cmp_eq_u32_e64 s2, s29, v6
	v_cndmask_b32_e64 v11, 0, -1, vcc_lo
	v_cmp_le_u32_e32 vcc_lo, s29, v8
	v_cndmask_b32_e64 v12, 0, -1, vcc_lo
	v_cmp_le_u32_e32 vcc_lo, s28, v5
	;; [unrolled: 2-line block ×3, first 2 shown]
	v_cndmask_b32_e64 v13, 0, -1, vcc_lo
	v_cmp_eq_u32_e32 vcc_lo, s29, v8
	s_delay_alu instid0(VALU_DEP_2) | instskip(SKIP_3) | instid1(VALU_DEP_3)
	v_cndmask_b32_e64 v5, v13, v5, s2
	v_cndmask_b32_e32 v8, v12, v11, vcc_lo
	v_add_co_u32 v11, vcc_lo, v2, 1
	v_add_co_ci_u32_e32 v12, vcc_lo, 0, v7, vcc_lo
	v_cmp_ne_u32_e32 vcc_lo, 0, v8
	s_delay_alu instid0(VALU_DEP_2) | instskip(NEXT) | instid1(VALU_DEP_4)
	v_cndmask_b32_e32 v6, v12, v10, vcc_lo
	v_cndmask_b32_e32 v8, v11, v9, vcc_lo
	v_cmp_ne_u32_e32 vcc_lo, 0, v5
	s_delay_alu instid0(VALU_DEP_2)
	v_dual_cndmask_b32 v31, v7, v6 :: v_dual_cndmask_b32 v30, v2, v8
.LBB0_4:                                ;   in Loop: Header=BB0_2 Depth=1
	s_and_not1_saveexec_b32 s2, s3
	s_cbranch_execz .LBB0_6
; %bb.5:                                ;   in Loop: Header=BB0_2 Depth=1
	v_cvt_f32_u32_e32 v2, s28
	s_sub_i32 s3, 0, s28
	v_mov_b32_e32 v31, v1
	s_delay_alu instid0(VALU_DEP_2) | instskip(SKIP_2) | instid1(VALU_DEP_1)
	v_rcp_iflag_f32_e32 v2, v2
	s_waitcnt_depctr 0xfff
	v_mul_f32_e32 v2, 0x4f7ffffe, v2
	v_cvt_u32_f32_e32 v2, v2
	s_delay_alu instid0(VALU_DEP_1) | instskip(NEXT) | instid1(VALU_DEP_1)
	v_mul_lo_u32 v5, s3, v2
	v_mul_hi_u32 v5, v2, v5
	s_delay_alu instid0(VALU_DEP_1) | instskip(NEXT) | instid1(VALU_DEP_1)
	v_add_nc_u32_e32 v2, v2, v5
	v_mul_hi_u32 v2, v3, v2
	s_delay_alu instid0(VALU_DEP_1) | instskip(SKIP_1) | instid1(VALU_DEP_2)
	v_mul_lo_u32 v5, v2, s28
	v_add_nc_u32_e32 v6, 1, v2
	v_sub_nc_u32_e32 v5, v3, v5
	s_delay_alu instid0(VALU_DEP_1) | instskip(SKIP_1) | instid1(VALU_DEP_2)
	v_subrev_nc_u32_e32 v7, s28, v5
	v_cmp_le_u32_e32 vcc_lo, s28, v5
	v_dual_cndmask_b32 v5, v5, v7 :: v_dual_cndmask_b32 v2, v2, v6
	s_delay_alu instid0(VALU_DEP_1) | instskip(NEXT) | instid1(VALU_DEP_2)
	v_cmp_le_u32_e32 vcc_lo, s28, v5
	v_add_nc_u32_e32 v6, 1, v2
	s_delay_alu instid0(VALU_DEP_1)
	v_cndmask_b32_e32 v30, v2, v6, vcc_lo
.LBB0_6:                                ;   in Loop: Header=BB0_2 Depth=1
	s_or_b32 exec_lo, exec_lo, s2
	s_delay_alu instid0(VALU_DEP_1) | instskip(NEXT) | instid1(VALU_DEP_2)
	v_mul_lo_u32 v2, v31, s28
	v_mul_lo_u32 v7, v30, s29
	s_load_b64 s[2:3], s[22:23], 0x0
	v_mad_u64_u32 v[5:6], null, v30, s28, 0
	s_load_b64 s[28:29], s[14:15], 0x0
	s_add_u32 s26, s26, 1
	s_addc_u32 s27, s27, 0
	s_add_u32 s14, s14, 8
	s_addc_u32 s15, s15, 0
	s_add_u32 s22, s22, 8
	s_delay_alu instid0(VALU_DEP_1) | instskip(SKIP_3) | instid1(VALU_DEP_2)
	v_add3_u32 v2, v6, v7, v2
	v_sub_co_u32 v6, vcc_lo, v3, v5
	s_addc_u32 s23, s23, 0
	s_add_u32 s24, s24, 8
	v_sub_co_ci_u32_e32 v4, vcc_lo, v4, v2, vcc_lo
	s_addc_u32 s25, s25, 0
	s_waitcnt lgkmcnt(0)
	s_delay_alu instid0(VALU_DEP_1)
	v_mul_lo_u32 v7, s2, v4
	v_mul_lo_u32 v8, s3, v6
	v_mad_u64_u32 v[2:3], null, s2, v6, v[20:21]
	v_mul_lo_u32 v9, s28, v4
	v_mul_lo_u32 v10, s29, v6
	v_mad_u64_u32 v[4:5], null, s28, v6, v[28:29]
	v_cmp_ge_u64_e64 s2, s[26:27], s[10:11]
	v_add3_u32 v21, v8, v3, v7
	v_mov_b32_e32 v20, v2
	s_delay_alu instid0(VALU_DEP_4)
	v_add3_u32 v29, v10, v5, v9
	v_mov_b32_e32 v28, v4
	s_and_b32 vcc_lo, exec_lo, s2
	s_cbranch_vccnz .LBB0_9
; %bb.7:                                ;   in Loop: Header=BB0_2 Depth=1
	v_dual_mov_b32 v3, v30 :: v_dual_mov_b32 v4, v31
	s_branch .LBB0_2
.LBB0_8:
	v_dual_mov_b32 v29, v21 :: v_dual_mov_b32 v28, v20
	s_delay_alu instid0(VALU_DEP_2)
	v_dual_mov_b32 v31, v4 :: v_dual_mov_b32 v30, v3
.LBB0_9:
	s_load_b64 s[0:1], s[0:1], 0x28
	v_mul_hi_u32 v2, 0x25ed098, v0
	s_lshl_b64 s[10:11], s[10:11], 3
                                        ; implicit-def: $sgpr14
                                        ; implicit-def: $vgpr50
                                        ; implicit-def: $vgpr54
                                        ; implicit-def: $vgpr55
                                        ; implicit-def: $vgpr52
                                        ; implicit-def: $vgpr53
	s_delay_alu instid0(SALU_CYCLE_1) | instskip(SKIP_4) | instid1(VALU_DEP_1)
	s_add_u32 s2, s18, s10
	s_addc_u32 s3, s19, s11
	s_waitcnt lgkmcnt(0)
	v_cmp_gt_u64_e32 vcc_lo, s[0:1], v[30:31]
	v_cmp_le_u64_e64 s0, s[0:1], v[30:31]
	s_and_saveexec_b32 s1, s0
	s_delay_alu instid0(SALU_CYCLE_1)
	s_xor_b32 s0, exec_lo, s1
; %bb.10:
	v_mul_u32_u24_e32 v1, 0x6c, v2
	s_mov_b32 s14, 0
                                        ; implicit-def: $vgpr2
                                        ; implicit-def: $vgpr20_vgpr21
	s_delay_alu instid0(VALU_DEP_1) | instskip(NEXT) | instid1(VALU_DEP_1)
	v_sub_nc_u32_e32 v50, v0, v1
                                        ; implicit-def: $vgpr0
	v_add_nc_u32_e32 v54, 0x6c, v50
	v_add_nc_u32_e32 v55, 0xd8, v50
	;; [unrolled: 1-line block ×4, first 2 shown]
; %bb.11:
	s_or_saveexec_b32 s1, s0
	s_load_b64 s[2:3], s[2:3], 0x0
	v_mov_b32_e32 v49, s14
                                        ; implicit-def: $vgpr7
                                        ; implicit-def: $vgpr13
                                        ; implicit-def: $vgpr11
                                        ; implicit-def: $vgpr5
                                        ; implicit-def: $vgpr19
                                        ; implicit-def: $vgpr17
                                        ; implicit-def: $vgpr9
                                        ; implicit-def: $vgpr15
                                        ; implicit-def: $vgpr42
                                        ; implicit-def: $vgpr34
                                        ; implicit-def: $vgpr44
                                        ; implicit-def: $vgpr40
                                        ; implicit-def: $vgpr1
                                        ; implicit-def: $vgpr38
                                        ; implicit-def: $vgpr36
                                        ; implicit-def: $vgpr48
                                        ; implicit-def: $vgpr46
                                        ; implicit-def: $vgpr3
	s_xor_b32 exec_lo, exec_lo, s1
	s_cbranch_execz .LBB0_15
; %bb.12:
	s_add_u32 s10, s16, s10
	s_addc_u32 s11, s17, s11
	v_mul_u32_u24_e32 v1, 0x6c, v2
	s_load_b64 s[10:11], s[10:11], 0x0
	s_delay_alu instid0(VALU_DEP_1) | instskip(SKIP_1) | instid1(VALU_DEP_2)
	v_sub_nc_u32_e32 v50, v0, v1
	v_lshlrev_b64 v[0:1], 3, v[20:21]
	v_add_nc_u32_e32 v18, 0x240, v50
	v_or_b32_e32 v19, 0x480, v50
	v_mad_u64_u32 v[2:3], null, s20, v50, 0
	v_add_nc_u32_e32 v21, 0x2ac, v50
	s_delay_alu instid0(VALU_DEP_4) | instskip(NEXT) | instid1(VALU_DEP_4)
	v_mad_u64_u32 v[4:5], null, s20, v18, 0
	v_mad_u64_u32 v[6:7], null, s20, v19, 0
	v_add_nc_u32_e32 v54, 0x6c, v50
	s_delay_alu instid0(VALU_DEP_4)
	v_mad_u64_u32 v[14:15], null, s20, v21, 0
	s_waitcnt lgkmcnt(0)
	v_mul_lo_u32 v16, s11, v30
	v_mul_lo_u32 v17, s10, v31
	v_mad_u64_u32 v[8:9], null, s10, v30, 0
	v_mad_u64_u32 v[12:13], null, s21, v50, v[3:4]
	v_mov_b32_e32 v3, v5
	v_mov_b32_e32 v5, v7
	v_mad_u64_u32 v[10:11], null, s20, v54, 0
	v_add3_u32 v9, v9, v17, v16
	s_delay_alu instid0(VALU_DEP_4) | instskip(SKIP_2) | instid1(VALU_DEP_4)
	v_mad_u64_u32 v[16:17], null, s21, v18, v[3:4]
	v_mov_b32_e32 v3, v12
	v_add_nc_u32_e32 v55, 0xd8, v50
	v_lshlrev_b64 v[8:9], 3, v[8:9]
	v_mov_b32_e32 v7, v11
	v_mad_u64_u32 v[11:12], null, s21, v19, v[5:6]
	v_lshlrev_b64 v[17:18], 3, v[2:3]
	v_mov_b32_e32 v5, v16
	s_delay_alu instid0(VALU_DEP_4) | instskip(SKIP_1) | instid1(VALU_DEP_1)
	v_mad_u64_u32 v[12:13], null, s21, v54, v[7:8]
	v_add_co_u32 v2, s0, s4, v8
	v_add_co_ci_u32_e64 v7, s0, s5, v9, s0
	v_add_nc_u32_e32 v40, 0x3f0, v50
	s_delay_alu instid0(VALU_DEP_3) | instskip(NEXT) | instid1(VALU_DEP_1)
	v_add_co_u32 v3, s0, v2, v0
	v_add_co_ci_u32_e64 v20, s0, v7, v1, s0
	v_mov_b32_e32 v7, v11
	v_dual_mov_b32 v11, v12 :: v_dual_add_nc_u32 v12, 0x4ec, v50
	v_lshlrev_b64 v[0:1], 3, v[4:5]
	v_add_co_u32 v4, s0, v3, v17
	v_mov_b32_e32 v2, v15
	s_delay_alu instid0(VALU_DEP_4) | instskip(SKIP_2) | instid1(VALU_DEP_4)
	v_mad_u64_u32 v[16:17], null, s20, v12, 0
	v_lshlrev_b64 v[8:9], 3, v[10:11]
	v_add_co_ci_u32_e64 v5, s0, v20, v18, s0
	v_mad_u64_u32 v[10:11], null, s21, v21, v[2:3]
	v_mad_u64_u32 v[21:22], null, s20, v55, 0
	v_mov_b32_e32 v2, v17
	v_add_co_u32 v0, s0, v3, v0
	s_delay_alu instid0(VALU_DEP_1) | instskip(NEXT) | instid1(VALU_DEP_3)
	v_add_co_ci_u32_e64 v1, s0, v20, v1, s0
	v_mad_u64_u32 v[23:24], null, s21, v12, v[2:3]
	v_mov_b32_e32 v2, v22
	v_lshlrev_b64 v[6:7], 3, v[6:7]
	v_dual_mov_b32 v15, v10 :: v_dual_add_nc_u32 v24, 0x318, v50
	v_add_nc_u32_e32 v52, 0x144, v50
	s_mov_b32 s4, exec_lo
	v_mov_b32_e32 v17, v23
	s_delay_alu instid0(VALU_DEP_4) | instskip(NEXT) | instid1(VALU_DEP_1)
	v_add_co_u32 v18, s0, v3, v6
	v_add_co_ci_u32_e64 v19, s0, v20, v7, s0
	v_add_co_u32 v8, s0, v3, v8
	s_delay_alu instid0(VALU_DEP_1)
	v_add_co_ci_u32_e64 v9, s0, v20, v9, s0
	s_clause 0x3
	global_load_b64 v[6:7], v[4:5], off
	global_load_b64 v[12:13], v[0:1], off
	global_load_b64 v[10:11], v[18:19], off
	global_load_b64 v[4:5], v[8:9], off
	v_mad_u64_u32 v[8:9], null, s20, v24, 0
	v_lshlrev_b64 v[0:1], 3, v[14:15]
	v_mad_u64_u32 v[14:15], null, s21, v55, v[2:3]
	v_lshlrev_b64 v[15:16], 3, v[16:17]
	s_delay_alu instid0(VALU_DEP_4) | instskip(NEXT) | instid1(VALU_DEP_4)
	v_dual_mov_b32 v2, v9 :: v_dual_add_nc_u32 v53, 0x1b0, v50
	v_add_co_u32 v0, s0, v3, v0
	s_delay_alu instid0(VALU_DEP_4) | instskip(SKIP_1) | instid1(VALU_DEP_4)
	v_mov_b32_e32 v22, v14
	v_add_co_ci_u32_e64 v1, s0, v20, v1, s0
	v_mad_u64_u32 v[17:18], null, s21, v24, v[2:3]
	v_add_co_u32 v14, s0, v3, v15
	s_delay_alu instid0(VALU_DEP_1) | instskip(NEXT) | instid1(VALU_DEP_3)
	v_add_co_ci_u32_e64 v15, s0, v20, v16, s0
	v_mov_b32_e32 v9, v17
	v_lshlrev_b64 v[16:17], 3, v[21:22]
	v_mad_u64_u32 v[21:22], null, s20, v52, 0
	v_add_nc_u32_e32 v25, 0x558, v50
	s_delay_alu instid0(VALU_DEP_1) | instskip(NEXT) | instid1(VALU_DEP_1)
	v_mad_u64_u32 v[23:24], null, s20, v25, 0
	v_mov_b32_e32 v2, v24
	s_delay_alu instid0(VALU_DEP_1) | instskip(SKIP_2) | instid1(VALU_DEP_1)
	v_mad_u64_u32 v[18:19], null, s21, v25, v[2:3]
	v_mov_b32_e32 v2, v22
	v_add_co_u32 v25, s0, v3, v16
	v_add_co_ci_u32_e64 v26, s0, v20, v17, s0
	s_delay_alu instid0(VALU_DEP_3) | instskip(SKIP_2) | instid1(VALU_DEP_3)
	v_mad_u64_u32 v[34:35], null, s21, v52, v[2:3]
	v_mov_b32_e32 v24, v18
	v_lshlrev_b64 v[8:9], 3, v[8:9]
	v_dual_mov_b32 v22, v34 :: v_dual_add_nc_u32 v27, 0x384, v50
	s_delay_alu instid0(VALU_DEP_2) | instskip(NEXT) | instid1(VALU_DEP_2)
	v_add_co_u32 v32, s0, v3, v8
	v_mad_u64_u32 v[35:36], null, s20, v27, 0
	s_delay_alu instid0(VALU_DEP_4)
	v_add_co_ci_u32_e64 v33, s0, v20, v9, s0
	s_clause 0x3
	global_load_b64 v[18:19], v[0:1], off
	global_load_b64 v[16:17], v[14:15], off
	;; [unrolled: 1-line block ×4, first 2 shown]
	v_add_nc_u32_e32 v32, 0x5c4, v50
	v_lshlrev_b64 v[0:1], 3, v[23:24]
	v_lshlrev_b64 v[21:22], 3, v[21:22]
	v_mov_b32_e32 v2, v36
	s_delay_alu instid0(VALU_DEP_4) | instskip(NEXT) | instid1(VALU_DEP_4)
	v_mad_u64_u32 v[23:24], null, s20, v32, 0
	v_add_co_u32 v0, s0, v3, v0
	s_delay_alu instid0(VALU_DEP_3) | instskip(SKIP_1) | instid1(VALU_DEP_4)
	v_mad_u64_u32 v[25:26], null, s21, v27, v[2:3]
	v_mad_u64_u32 v[26:27], null, s20, v53, 0
	v_mov_b32_e32 v2, v24
	v_add_co_ci_u32_e64 v1, s0, v20, v1, s0
	v_add_co_u32 v21, s0, v3, v21
	v_mov_b32_e32 v36, v25
	s_delay_alu instid0(VALU_DEP_4) | instskip(SKIP_3) | instid1(VALU_DEP_4)
	v_mad_u64_u32 v[24:25], null, s21, v32, v[2:3]
	v_mad_u64_u32 v[32:33], null, s20, v40, 0
	v_dual_mov_b32 v2, v27 :: v_dual_add_nc_u32 v25, 0x630, v50
	v_add_co_ci_u32_e64 v22, s0, v20, v22, s0
	v_lshlrev_b64 v[23:24], 3, v[23:24]
	s_delay_alu instid0(VALU_DEP_3) | instskip(NEXT) | instid1(VALU_DEP_4)
	v_mad_u64_u32 v[37:38], null, s21, v53, v[2:3]
	v_mad_u64_u32 v[38:39], null, s20, v25, 0
	v_mov_b32_e32 v2, v33
	v_lshlrev_b64 v[33:34], 3, v[35:36]
	s_delay_alu instid0(VALU_DEP_4) | instskip(NEXT) | instid1(VALU_DEP_3)
	v_mov_b32_e32 v27, v37
	v_mad_u64_u32 v[35:36], null, s21, v40, v[2:3]
	v_mov_b32_e32 v2, v39
	s_delay_alu instid0(VALU_DEP_4) | instskip(NEXT) | instid1(VALU_DEP_1)
	v_add_co_u32 v36, s0, v3, v33
	v_add_co_ci_u32_e64 v37, s0, v20, v34, s0
	s_delay_alu instid0(VALU_DEP_3) | instskip(SKIP_3) | instid1(VALU_DEP_1)
	v_mad_u64_u32 v[39:40], null, s21, v25, v[2:3]
	v_mov_b32_e32 v33, v35
	v_lshlrev_b64 v[25:26], 3, v[26:27]
	v_add_co_u32 v23, s0, v3, v23
	v_add_co_ci_u32_e64 v24, s0, v20, v24, s0
	s_delay_alu instid0(VALU_DEP_4) | instskip(NEXT) | instid1(VALU_DEP_4)
	v_lshlrev_b64 v[32:33], 3, v[32:33]
	v_add_co_u32 v25, s0, v3, v25
	v_lshlrev_b64 v[34:35], 3, v[38:39]
	v_add_co_ci_u32_e64 v26, s0, v20, v26, s0
	s_delay_alu instid0(VALU_DEP_4) | instskip(NEXT) | instid1(VALU_DEP_1)
	v_add_co_u32 v45, s0, v3, v32
	v_add_co_ci_u32_e64 v46, s0, v20, v33, s0
	s_delay_alu instid0(VALU_DEP_4) | instskip(NEXT) | instid1(VALU_DEP_1)
	v_add_co_u32 v47, s0, v3, v34
	v_add_co_ci_u32_e64 v48, s0, v20, v35, s0
	s_clause 0x6
	global_load_b64 v[41:42], v[0:1], off
	global_load_b64 v[33:34], v[21:22], off
	;; [unrolled: 1-line block ×7, first 2 shown]
                                        ; implicit-def: $vgpr2
                                        ; implicit-def: $vgpr45
                                        ; implicit-def: $vgpr47
	v_cmpx_gt_u32_e32 36, v50
	s_cbranch_execz .LBB0_14
; %bb.13:
	v_add_nc_u32_e32 v32, 0x21c, v50
	v_add_nc_u32_e32 v48, 0x69c, v50
	s_delay_alu instid0(VALU_DEP_2) | instskip(SKIP_1) | instid1(VALU_DEP_3)
	v_mad_u64_u32 v[21:22], null, s20, v32, 0
	v_add_nc_u32_e32 v47, 0x45c, v50
	v_mad_u64_u32 v[25:26], null, s20, v48, 0
	s_delay_alu instid0(VALU_DEP_3) | instskip(NEXT) | instid1(VALU_DEP_3)
	v_mov_b32_e32 v2, v22
	v_mad_u64_u32 v[23:24], null, s20, v47, 0
	s_delay_alu instid0(VALU_DEP_1) | instskip(NEXT) | instid1(VALU_DEP_4)
	v_mov_b32_e32 v22, v24
	v_mov_b32_e32 v24, v26
	s_delay_alu instid0(VALU_DEP_4) | instskip(NEXT) | instid1(VALU_DEP_3)
	v_mad_u64_u32 v[26:27], null, s21, v32, v[2:3]
	v_mad_u64_u32 v[45:46], null, s21, v47, v[22:23]
	s_delay_alu instid0(VALU_DEP_3) | instskip(NEXT) | instid1(VALU_DEP_3)
	v_mad_u64_u32 v[46:47], null, s21, v48, v[24:25]
	v_mov_b32_e32 v22, v26
	s_delay_alu instid0(VALU_DEP_3) | instskip(NEXT) | instid1(VALU_DEP_2)
	v_mov_b32_e32 v24, v45
	v_lshlrev_b64 v[21:22], 3, v[21:22]
	s_delay_alu instid0(VALU_DEP_4) | instskip(NEXT) | instid1(VALU_DEP_3)
	v_mov_b32_e32 v26, v46
	v_lshlrev_b64 v[23:24], 3, v[23:24]
	s_delay_alu instid0(VALU_DEP_2) | instskip(NEXT) | instid1(VALU_DEP_4)
	v_lshlrev_b64 v[25:26], 3, v[25:26]
	v_add_co_u32 v21, s0, v3, v21
	s_delay_alu instid0(VALU_DEP_1) | instskip(NEXT) | instid1(VALU_DEP_4)
	v_add_co_ci_u32_e64 v22, s0, v20, v22, s0
	v_add_co_u32 v23, s0, v3, v23
	s_delay_alu instid0(VALU_DEP_1) | instskip(SKIP_1) | instid1(VALU_DEP_1)
	v_add_co_ci_u32_e64 v24, s0, v20, v24, s0
	v_add_co_u32 v25, s0, v3, v25
	v_add_co_ci_u32_e64 v26, s0, v20, v26, s0
	s_clause 0x2
	global_load_b64 v[2:3], v[21:22], off
	global_load_b64 v[45:46], v[23:24], off
	;; [unrolled: 1-line block ×3, first 2 shown]
.LBB0_14:
	s_or_b32 exec_lo, exec_lo, s4
	v_mov_b32_e32 v49, v50
.LBB0_15:
	s_or_b32 exec_lo, exec_lo, s1
	s_waitcnt vmcnt(12)
	v_dual_add_f32 v20, v12, v10 :: v_dual_add_f32 v21, v6, v12
	s_waitcnt vmcnt(9)
	v_dual_sub_f32 v22, v13, v11 :: v_dual_add_f32 v23, v18, v16
	s_waitcnt vmcnt(4)
	v_dual_sub_f32 v24, v19, v17 :: v_dual_add_f32 v27, v33, v43
	v_dual_fmac_f32 v6, -0.5, v20 :: v_dual_add_f32 v21, v21, v10
	v_add_f32_e32 v20, v4, v18
	s_waitcnt vmcnt(1)
	v_dual_fmac_f32 v4, -0.5, v23 :: v_dual_add_f32 v57, v45, v2
	s_delay_alu instid0(VALU_DEP_3) | instskip(SKIP_2) | instid1(VALU_DEP_4)
	v_fmamk_f32 v23, v22, 0xbf5db3d7, v6
	v_fmac_f32_e32 v6, 0x3f5db3d7, v22
	v_add_f32_e32 v20, v20, v16
	v_dual_add_f32 v22, v14, v41 :: v_dual_fmamk_f32 v25, v24, 0xbf5db3d7, v4
	s_waitcnt vmcnt(0)
	v_dual_fmac_f32 v4, 0x3f5db3d7, v24 :: v_dual_add_f32 v61, v47, v57
	v_add_f32_e32 v24, v43, v39
	v_add_f32_e32 v56, v0, v37
	v_mad_u32_u24 v64, v50, 12, 0
	v_mad_i32_i24 v63, v54, 12, 0
	v_mad_i32_i24 v62, v55, 12, 0
	v_fmac_f32_e32 v33, -0.5, v24
	v_sub_f32_e32 v24, v44, v40
	v_add_f32_e32 v26, v8, v14
	v_fmac_f32_e32 v8, -0.5, v22
	v_sub_f32_e32 v22, v15, v42
	v_add_f32_e32 v56, v56, v35
	v_fmamk_f32 v51, v24, 0xbf5db3d7, v33
	v_dual_fmac_f32 v33, 0x3f5db3d7, v24 :: v_dual_add_f32 v24, v47, v45
	s_delay_alu instid0(VALU_DEP_4) | instskip(SKIP_2) | instid1(VALU_DEP_4)
	v_fmamk_f32 v32, v22, 0xbf5db3d7, v8
	v_fmac_f32_e32 v8, 0x3f5db3d7, v22
	v_add_f32_e32 v22, v27, v39
	v_dual_add_f32 v27, v37, v35 :: v_dual_fmac_f32 v2, -0.5, v24
	v_sub_f32_e32 v24, v46, v48
	ds_store_2addr_b32 v64, v21, v23 offset1:1
	ds_store_b32 v64, v6 offset:8
	ds_store_2addr_b32 v63, v20, v25 offset1:1
	ds_store_b32 v63, v4 offset:8
	v_dual_fmac_f32 v0, -0.5, v27 :: v_dual_sub_f32 v27, v38, v36
	v_add_f32_e32 v26, v26, v41
	v_fmamk_f32 v60, v24, 0xbf5db3d7, v2
	v_fmac_f32_e32 v2, 0x3f5db3d7, v24
	v_mad_i32_i24 v4, v52, 12, 0
	v_fmamk_f32 v59, v27, 0xbf5db3d7, v0
	v_fmac_f32_e32 v0, 0x3f5db3d7, v27
	v_cmp_gt_u32_e64 s1, 36, v50
	v_mad_i32_i24 v6, v53, 12, 0
	ds_store_2addr_b32 v62, v26, v32 offset1:1
	ds_store_b32 v62, v8 offset:8
	ds_store_2addr_b32 v4, v22, v51 offset1:1
	ds_store_b32 v4, v33 offset:8
	;; [unrolled: 2-line block ×3, first 2 shown]
	s_and_saveexec_b32 s0, s1
	s_cbranch_execz .LBB0_17
; %bb.16:
	v_add_nc_u32_e32 v4, 0x1950, v64
	ds_store_2addr_b32 v4, v61, v60 offset1:1
	ds_store_b32 v64, v2 offset:6488
.LBB0_17:
	s_or_b32 exec_lo, exec_lo, s0
	v_lshlrev_b32_e32 v4, 3, v50
	v_lshlrev_b32_e32 v6, 3, v54
	s_waitcnt lgkmcnt(0)
	s_barrier
	buffer_gl0_inv
	v_sub_nc_u32_e32 v51, v64, v4
	v_sub_nc_u32_e32 v4, v63, v6
	v_cmp_gt_u32_e64 s0, 0x48, v50
	v_lshlrev_b32_e32 v65, 3, v55
	s_delay_alu instid0(VALU_DEP_4)
	v_add_nc_u32_e32 v8, 0x400, v51
	v_add_nc_u32_e32 v20, 0x800, v51
	;; [unrolled: 1-line block ×5, first 2 shown]
	ds_load_2addr_b32 v[32:33], v8 offset0:32 offset1:140
	ds_load_2addr_b32 v[26:27], v20 offset0:64 offset1:172
	;; [unrolled: 1-line block ×5, first 2 shown]
	ds_load_b32 v58, v51
	ds_load_b32 v57, v4
	v_mul_i32_i24_e32 v8, 12, v52
	v_mul_i32_i24_e32 v4, 12, v53
	s_and_saveexec_b32 s4, s0
	s_cbranch_execz .LBB0_19
; %bb.18:
	v_sub_nc_u32_e32 v2, v62, v65
	ds_load_b32 v59, v51 offset:2016
	ds_load_b32 v0, v51 offset:3168
	;; [unrolled: 1-line block ×4, first 2 shown]
	ds_load_b32 v56, v2
	ds_load_b32 v2, v51 offset:6624
.LBB0_19:
	s_or_b32 exec_lo, exec_lo, s4
	v_dual_add_f32 v66, v13, v11 :: v_dual_add_f32 v13, v7, v13
	v_sub_f32_e32 v10, v12, v10
	v_dual_add_f32 v12, v19, v17 :: v_dual_add_f32 v19, v5, v19
	s_delay_alu instid0(VALU_DEP_3) | instskip(NEXT) | instid1(VALU_DEP_4)
	v_dual_fmac_f32 v7, -0.5, v66 :: v_dual_sub_f32 v16, v18, v16
	v_add_f32_e32 v11, v13, v11
	s_delay_alu instid0(VALU_DEP_3) | instskip(SKIP_1) | instid1(VALU_DEP_4)
	v_fmac_f32_e32 v5, -0.5, v12
	v_sub_nc_u32_e32 v6, 0, v6
	v_dual_fmamk_f32 v12, v10, 0x3f5db3d7, v7 :: v_dual_add_f32 v13, v15, v42
	v_dual_fmac_f32 v7, 0xbf5db3d7, v10 :: v_dual_add_f32 v10, v19, v17
	s_delay_alu instid0(VALU_DEP_4) | instskip(SKIP_1) | instid1(VALU_DEP_4)
	v_dual_fmamk_f32 v66, v16, 0x3f5db3d7, v5 :: v_dual_add_f32 v15, v9, v15
	v_fmac_f32_e32 v5, 0xbf5db3d7, v16
	v_dual_add_f32 v16, v44, v40 :: v_dual_fmac_f32 v9, -0.5, v13
	v_sub_f32_e32 v13, v14, v41
	s_delay_alu instid0(VALU_DEP_4) | instskip(NEXT) | instid1(VALU_DEP_3)
	v_dual_add_f32 v14, v34, v44 :: v_dual_add_f32 v15, v15, v42
	v_fmac_f32_e32 v34, -0.5, v16
	s_delay_alu instid0(VALU_DEP_3) | instskip(SKIP_1) | instid1(VALU_DEP_4)
	v_dual_sub_f32 v16, v43, v39 :: v_dual_fmamk_f32 v39, v13, 0x3f5db3d7, v9
	v_fmac_f32_e32 v9, 0xbf5db3d7, v13
	v_add_f32_e32 v13, v14, v40
	v_add_f32_e32 v14, v38, v36
	s_delay_alu instid0(VALU_DEP_4)
	v_fmamk_f32 v40, v16, 0x3f5db3d7, v34
	v_fmac_f32_e32 v34, 0xbf5db3d7, v16
	v_add_f32_e32 v16, v48, v46
	v_sub_f32_e32 v18, v37, v35
	v_add_f32_e32 v19, v46, v3
	s_waitcnt lgkmcnt(0)
	s_barrier
	v_dual_fmac_f32 v3, -0.5, v16 :: v_dual_sub_f32 v16, v45, v47
	v_add_f32_e32 v17, v1, v38
	v_fmac_f32_e32 v1, -0.5, v14
	buffer_gl0_inv
	ds_store_2addr_b32 v64, v11, v12 offset1:1
	ds_store_b32 v64, v7 offset:8
	v_add_nc_u32_e32 v7, 0, v8
	v_dual_add_f32 v14, v17, v36 :: v_dual_fmamk_f32 v17, v18, 0x3f5db3d7, v1
	v_dual_fmac_f32 v1, 0xbf5db3d7, v18 :: v_dual_add_nc_u32 v4, 0, v4
	v_add_f32_e32 v19, v48, v19
	v_fmamk_f32 v18, v16, 0x3f5db3d7, v3
	v_fmac_f32_e32 v3, 0xbf5db3d7, v16
	ds_store_2addr_b32 v63, v10, v66 offset1:1
	ds_store_b32 v63, v5 offset:8
	ds_store_2addr_b32 v62, v15, v39 offset1:1
	ds_store_b32 v62, v9 offset:8
	;; [unrolled: 2-line block ×4, first 2 shown]
	s_and_saveexec_b32 s4, s1
	s_cbranch_execz .LBB0_21
; %bb.20:
	v_add_nc_u32_e32 v4, 0x21c, v50
	s_delay_alu instid0(VALU_DEP_1)
	v_mad_u32_u24 v4, v4, 12, 0
	ds_store_2addr_b32 v4, v19, v18 offset1:1
	ds_store_b32 v4, v3 offset:8
.LBB0_21:
	s_or_b32 exec_lo, exec_lo, s4
	v_add_nc_u32_e32 v4, 0x400, v51
	v_add_nc_u32_e32 v7, 0x800, v51
	;; [unrolled: 1-line block ×6, first 2 shown]
	s_waitcnt lgkmcnt(0)
	s_barrier
	buffer_gl0_inv
	ds_load_2addr_b32 v[4:5], v4 offset0:32 offset1:140
	ds_load_2addr_b32 v[8:9], v7 offset0:64 offset1:172
	;; [unrolled: 1-line block ×5, first 2 shown]
	ds_load_b32 v16, v51
	ds_load_b32 v15, v44
	s_and_saveexec_b32 s1, s0
	s_cbranch_execz .LBB0_23
; %bb.22:
	v_sub_nc_u32_e32 v3, v62, v65
	ds_load_b32 v17, v51 offset:2016
	ds_load_b32 v1, v51 offset:3168
	;; [unrolled: 1-line block ×4, first 2 shown]
	ds_load_b32 v14, v3
	ds_load_b32 v3, v51 offset:6624
.LBB0_23:
	s_or_b32 exec_lo, exec_lo, s1
	v_and_b32_e32 v34, 0xff, v50
	v_and_b32_e32 v35, 0xff, v54
	s_delay_alu instid0(VALU_DEP_2) | instskip(NEXT) | instid1(VALU_DEP_1)
	v_mul_lo_u16 v36, 0xab, v34
	v_lshrrev_b16 v41, 9, v36
	s_delay_alu instid0(VALU_DEP_3) | instskip(NEXT) | instid1(VALU_DEP_2)
	v_mul_lo_u16 v36, 0xab, v35
	v_mul_lo_u16 v37, v41, 3
	s_delay_alu instid0(VALU_DEP_2) | instskip(SKIP_1) | instid1(VALU_DEP_3)
	v_lshrrev_b16 v42, 9, v36
	v_and_b32_e32 v36, 0xffff, v55
	v_sub_nc_u16 v37, v50, v37
	s_delay_alu instid0(VALU_DEP_3) | instskip(NEXT) | instid1(VALU_DEP_2)
	v_mul_lo_u16 v38, v42, 3
	v_and_b32_e32 v43, 0xff, v37
	s_delay_alu instid0(VALU_DEP_4) | instskip(NEXT) | instid1(VALU_DEP_3)
	v_mul_u32_u24_e32 v37, 0xaaab, v36
	v_sub_nc_u16 v38, v54, v38
	s_delay_alu instid0(VALU_DEP_3) | instskip(NEXT) | instid1(VALU_DEP_3)
	v_mul_u32_u24_e32 v39, 5, v43
	v_lshrrev_b32_e32 v45, 17, v37
	s_delay_alu instid0(VALU_DEP_3) | instskip(NEXT) | instid1(VALU_DEP_3)
	v_and_b32_e32 v46, 0xff, v38
	v_lshlrev_b32_e32 v47, 3, v39
	s_delay_alu instid0(VALU_DEP_3)
	v_mul_lo_u16 v48, v45, 3
	s_clause 0x1
	global_load_b128 v[37:40], v47, s[8:9]
	global_load_b128 v[64:67], v47, s[8:9] offset:16
	v_sub_nc_u16 v48, v55, v48
	v_and_b32_e32 v42, 0xffff, v42
	s_delay_alu instid0(VALU_DEP_2)
	v_and_b32_e32 v48, 0xffff, v48
	s_waitcnt vmcnt(1)
	v_mul_f32_e32 v63, v26, v40
	s_waitcnt vmcnt(0) lgkmcnt(4)
	v_mul_f32_e32 v93, v12, v65
	v_mul_u32_u24_e32 v62, 5, v46
	v_mul_f32_e32 v69, v24, v65
	s_waitcnt lgkmcnt(3)
	v_mul_f32_e32 v65, v10, v67
	v_mul_f32_e32 v67, v22, v67
	v_mul_u32_u24_e32 v42, 0x48, v42
	v_lshlrev_b32_e32 v62, 3, v62
	v_fma_f32 v72, v8, v39, -v63
	s_clause 0x1
	global_load_b64 v[70:71], v47, s[8:9] offset:32
	global_load_b128 v[73:76], v62, s[8:9]
	v_mul_u32_u24_e32 v47, 5, v48
	s_clause 0x1
	global_load_b128 v[77:80], v62, s[8:9] offset:16
	global_load_b64 v[89:90], v62, s[8:9] offset:32
	v_and_b32_e32 v41, 0xffff, v41
	v_lshlrev_b32_e32 v62, 2, v46
	v_mul_lo_u16 v46, v45, 18
	v_lshlrev_b32_e32 v47, 3, v47
	v_mul_f32_e32 v45, v32, v38
	s_clause 0x2
	global_load_b128 v[81:84], v47, s[8:9]
	global_load_b128 v[85:88], v47, s[8:9] offset:16
	global_load_b64 v[91:92], v47, s[8:9] offset:32
	v_lshlrev_b32_e32 v47, 2, v43
	v_lshlrev_b32_e32 v43, 2, v48
	v_fma_f32 v68, v4, v37, -v45
	s_waitcnt vmcnt(0) lgkmcnt(0)
	s_barrier
	buffer_gl0_inv
	v_fmac_f32_e32 v93, v24, v64
	v_fmac_f32_e32 v65, v22, v66
	v_mul_f32_e32 v94, v6, v71
	v_mul_u32_u24_e32 v41, 0x48, v41
	v_dual_mul_f32 v96, v13, v78 :: v_dual_mul_f32 v95, v20, v71
	v_mul_f32_e32 v78, v25, v78
	v_fma_f32 v71, v12, v64, -v69
	s_delay_alu instid0(VALU_DEP_4)
	v_add3_u32 v48, 0, v41, v47
	v_mul_f32_e32 v41, v11, v80
	v_add3_u32 v47, 0, v42, v62
	v_mul_f32_e32 v42, v4, v38
	v_mul_f32_e32 v62, v8, v40
	;; [unrolled: 1-line block ×4, first 2 shown]
	s_delay_alu instid0(VALU_DEP_4) | instskip(SKIP_3) | instid1(VALU_DEP_4)
	v_dual_mul_f32 v97, v7, v90 :: v_dual_fmac_f32 v42, v32, v37
	v_mul_f32_e32 v80, v23, v80
	v_mul_f32_e32 v38, v5, v74
	;; [unrolled: 1-line block ×3, first 2 shown]
	v_dual_fmac_f32 v97, v21, v89 :: v_dual_fmac_f32 v62, v26, v39
	v_mul_f32_e32 v39, v1, v84
	v_mul_f32_e32 v4, v21, v90
	v_fma_f32 v69, v10, v66, -v67
	v_fma_f32 v67, v9, v75, -v76
	;; [unrolled: 1-line block ×3, first 2 shown]
	v_fmac_f32_e32 v94, v20, v70
	v_fma_f32 v70, v6, v70, -v95
	v_mul_f32_e32 v10, v18, v88
	v_mul_f32_e32 v26, v17, v82
	v_dual_mul_f32 v8, v59, v82 :: v_dual_fmac_f32 v39, v0, v83
	v_mul_f32_e32 v32, v61, v86
	v_dual_fmac_f32 v38, v33, v73 :: v_dual_mul_f32 v33, v2, v92
	v_fma_f32 v63, v5, v73, -v74
	v_fma_f32 v66, v13, v77, -v78
	v_dual_sub_f32 v5, v71, v70 :: v_dual_fmac_f32 v10, v60, v87
	v_fmac_f32_e32 v96, v25, v77
	v_fma_f32 v25, v7, v89, -v4
	v_dual_mul_f32 v22, v0, v84 :: v_dual_fmac_f32 v41, v23, v79
	v_mul_f32_e32 v24, v19, v86
	s_delay_alu instid0(VALU_DEP_3) | instskip(SKIP_3) | instid1(VALU_DEP_4)
	v_dual_fmac_f32 v40, v27, v75 :: v_dual_sub_f32 v23, v66, v25
	v_mul_f32_e32 v20, v3, v92
	v_fma_f32 v11, v3, v91, -v33
	v_add_f32_e32 v3, v42, v93
	v_add_f32_e32 v9, v40, v41
	v_fma_f32 v13, v19, v85, -v32
	v_sub_f32_e32 v19, v67, v64
	v_dual_mul_f32 v6, v60, v88 :: v_dual_sub_f32 v7, v93, v94
	v_fma_f32 v12, v17, v81, -v8
	s_delay_alu instid0(VALU_DEP_4) | instskip(SKIP_1) | instid1(VALU_DEP_4)
	v_add_f32_e32 v73, v13, v11
	v_fma_f32 v21, v1, v83, -v22
	v_fma_f32 v17, v18, v87, -v6
	v_dual_add_f32 v6, v71, v70 :: v_dual_add_f32 v1, v62, v65
	v_dual_add_f32 v8, v57, v40 :: v_dual_fmac_f32 v57, -0.5, v9
	v_add_f32_e32 v4, v93, v94
	s_delay_alu instid0(VALU_DEP_3) | instskip(SKIP_2) | instid1(VALU_DEP_3)
	v_fma_f32 v74, -0.5, v6, v68
	v_fmac_f32_e32 v24, v61, v85
	v_dual_add_f32 v0, v58, v62 :: v_dual_sub_f32 v77, v13, v11
	v_dual_add_f32 v27, v66, v25 :: v_dual_fmamk_f32 v76, v7, 0x3f5db3d7, v74
	v_fmac_f32_e32 v74, 0xbf5db3d7, v7
	v_add_f32_e32 v33, v56, v39
	v_dual_add_f32 v37, v39, v10 :: v_dual_fmac_f32 v58, -0.5, v1
	v_add_f32_e32 v1, v3, v94
	v_dual_add_f32 v3, v8, v41 :: v_dual_fmac_f32 v42, -0.5, v4
	v_dual_mul_f32 v7, 0xbf5db3d7, v74 :: v_dual_add_f32 v18, v38, v96
	v_dual_fmac_f32 v20, v2, v91 :: v_dual_sub_f32 v45, v21, v17
	v_fmac_f32_e32 v26, v59, v81
	v_sub_f32_e32 v32, v96, v97
	v_fma_f32 v60, -0.5, v27, v63
	v_dual_fmamk_f32 v75, v5, 0xbf5db3d7, v42 :: v_dual_add_f32 v4, v18, v97
	v_add_f32_e32 v61, v24, v20
	v_dual_sub_f32 v2, v72, v69 :: v_dual_add_f32 v59, v26, v24
	s_delay_alu instid0(VALU_DEP_3) | instskip(NEXT) | instid1(VALU_DEP_2)
	v_dual_fmac_f32 v42, 0x3f5db3d7, v5 :: v_dual_add_f32 v5, v3, v4
	v_dual_add_f32 v22, v96, v97 :: v_dual_fmamk_f32 v9, v2, 0xbf5db3d7, v58
	v_sub_f32_e32 v24, v24, v20
	v_fma_f32 v18, -0.5, v73, v12
	v_fmac_f32_e32 v26, -0.5, v61
	s_delay_alu instid0(VALU_DEP_4) | instskip(SKIP_3) | instid1(VALU_DEP_3)
	v_fmac_f32_e32 v38, -0.5, v22
	v_add_f32_e32 v0, v0, v65
	v_add_f32_e32 v8, v59, v20
	v_fmac_f32_e32 v58, 0x3f5db3d7, v2
	v_dual_fmamk_f32 v61, v23, 0xbf5db3d7, v38 :: v_dual_add_f32 v2, v0, v1
	v_dual_sub_f32 v0, v0, v1 :: v_dual_fmamk_f32 v1, v19, 0xbf5db3d7, v57
	v_dual_fmac_f32 v57, 0x3f5db3d7, v19 :: v_dual_add_f32 v6, v33, v10
	v_fmamk_f32 v59, v24, 0x3f5db3d7, v18
	v_fmamk_f32 v73, v32, 0x3f5db3d7, v60
	v_fmac_f32_e32 v18, 0xbf5db3d7, v24
	v_dual_fmac_f32 v56, -0.5, v37 :: v_dual_sub_f32 v3, v3, v4
	s_delay_alu instid0(VALU_DEP_2) | instskip(SKIP_3) | instid1(VALU_DEP_1)
	v_mul_f32_e32 v37, 0xbf5db3d7, v18
	v_dual_fmamk_f32 v19, v77, 0xbf5db3d7, v26 :: v_dual_add_f32 v20, v6, v8
	v_sub_f32_e32 v24, v6, v8
	v_mul_f32_e32 v8, 0xbf5db3d7, v73
	v_fmac_f32_e32 v8, 0.5, v61
	v_fmac_f32_e32 v38, 0x3f5db3d7, v23
	v_mul_f32_e32 v23, 0xbf5db3d7, v59
	s_delay_alu instid0(VALU_DEP_1) | instskip(NEXT) | instid1(VALU_DEP_1)
	v_dual_fmac_f32 v23, 0.5, v19 :: v_dual_fmac_f32 v26, 0x3f5db3d7, v77
	v_fmac_f32_e32 v37, -0.5, v26
	v_dual_fmac_f32 v7, -0.5, v42 :: v_dual_mul_f32 v6, 0xbf5db3d7, v76
	v_fmamk_f32 v4, v45, 0xbf5db3d7, v56
	s_delay_alu instid0(VALU_DEP_2) | instskip(NEXT) | instid1(VALU_DEP_3)
	v_dual_fmac_f32 v56, 0x3f5db3d7, v45 :: v_dual_add_f32 v77, v58, v7
	v_fmac_f32_e32 v6, 0.5, v75
	v_sub_f32_e32 v7, v58, v7
	s_delay_alu instid0(VALU_DEP_2)
	v_add_f32_e32 v45, v9, v6
	v_sub_f32_e32 v6, v9, v6
	v_add_f32_e32 v9, v1, v8
	v_sub_f32_e32 v1, v1, v8
	v_dual_fmac_f32 v60, 0xbf5db3d7, v32 :: v_dual_add_f32 v33, v56, v37
	v_sub_f32_e32 v37, v56, v37
	v_add_f32_e32 v32, v4, v23
	s_delay_alu instid0(VALU_DEP_3) | instskip(NEXT) | instid1(VALU_DEP_1)
	v_dual_sub_f32 v27, v4, v23 :: v_dual_mul_f32 v22, 0xbf5db3d7, v60
	v_fmac_f32_e32 v22, -0.5, v38
	s_delay_alu instid0(VALU_DEP_1)
	v_add_f32_e32 v58, v57, v22
	v_sub_f32_e32 v8, v57, v22
	ds_store_2addr_b32 v48, v2, v45 offset1:3
	ds_store_2addr_b32 v48, v77, v0 offset0:6 offset1:9
	ds_store_2addr_b32 v48, v6, v7 offset0:12 offset1:15
	ds_store_2addr_b32 v47, v5, v9 offset1:3
	ds_store_2addr_b32 v47, v58, v3 offset0:6 offset1:9
	ds_store_2addr_b32 v47, v1, v8 offset0:12 offset1:15
	s_and_saveexec_b32 s1, s0
	s_cbranch_execz .LBB0_25
; %bb.24:
	v_and_b32_e32 v0, 0xffff, v46
	s_delay_alu instid0(VALU_DEP_1) | instskip(NEXT) | instid1(VALU_DEP_1)
	v_lshlrev_b32_e32 v0, 2, v0
	v_add3_u32 v0, 0, v43, v0
	ds_store_2addr_b32 v0, v20, v32 offset1:3
	ds_store_2addr_b32 v0, v33, v24 offset0:6 offset1:9
	ds_store_2addr_b32 v0, v27, v37 offset0:12 offset1:15
.LBB0_25:
	s_or_b32 exec_lo, exec_lo, s1
	v_add_nc_u32_e32 v0, 0x400, v51
	v_add_nc_u32_e32 v1, 0x800, v51
	;; [unrolled: 1-line block ×5, first 2 shown]
	s_waitcnt lgkmcnt(0)
	s_barrier
	buffer_gl0_inv
	ds_load_2addr_b32 v[8:9], v0 offset0:32 offset1:140
	ds_load_2addr_b32 v[6:7], v1 offset0:64 offset1:172
	;; [unrolled: 1-line block ×5, first 2 shown]
	ds_load_b32 v23, v51
	ds_load_b32 v22, v44
	v_lshl_add_u32 v45, v55, 2, 0
	s_and_saveexec_b32 s1, s0
	s_cbranch_execz .LBB0_27
; %bb.26:
	ds_load_b32 v32, v51 offset:2016
	ds_load_b32 v33, v51 offset:3168
	;; [unrolled: 1-line block ×4, first 2 shown]
	ds_load_b32 v20, v45
	ds_load_b32 v37, v51 offset:6624
.LBB0_27:
	s_or_b32 exec_lo, exec_lo, s1
	v_add_f32_e32 v56, v72, v69
	v_dual_add_f32 v57, v16, v72 :: v_dual_sub_f32 v58, v62, v65
	v_dual_add_f32 v62, v68, v71 :: v_dual_mul_f32 v65, 0.5, v76
	s_delay_alu instid0(VALU_DEP_2) | instskip(SKIP_1) | instid1(VALU_DEP_3)
	v_dual_fmac_f32 v16, -0.5, v56 :: v_dual_add_f32 v57, v57, v69
	v_sub_f32_e32 v40, v40, v41
	v_dual_add_f32 v62, v62, v70 :: v_dual_mul_f32 v41, 0.5, v73
	s_delay_alu instid0(VALU_DEP_3) | instskip(SKIP_1) | instid1(VALU_DEP_3)
	v_dual_fmac_f32 v65, 0x3f5db3d7, v75 :: v_dual_fmamk_f32 v68, v58, 0x3f5db3d7, v16
	v_fmac_f32_e32 v16, 0xbf5db3d7, v58
	v_dual_add_f32 v58, v57, v62 :: v_dual_fmac_f32 v41, 0x3f5db3d7, v61
	v_sub_f32_e32 v57, v57, v62
	s_delay_alu instid0(VALU_DEP_4) | instskip(SKIP_3) | instid1(VALU_DEP_4)
	v_dual_mul_f32 v56, -0.5, v74 :: v_dual_add_f32 v69, v68, v65
	v_mul_f32_e32 v60, -0.5, v60
	v_mul_f32_e32 v18, -0.5, v18
	v_sub_f32_e32 v62, v68, v65
	v_fmac_f32_e32 v56, 0x3f5db3d7, v42
	v_add_f32_e32 v42, v67, v64
	v_fmac_f32_e32 v60, 0x3f5db3d7, v38
	v_fmac_f32_e32 v18, 0x3f5db3d7, v26
	v_add_f32_e32 v38, v21, v17
	v_add_f32_e32 v70, v16, v56
	v_sub_f32_e32 v16, v16, v56
	v_dual_add_f32 v56, v15, v67 :: v_dual_add_f32 v21, v14, v21
	v_fmac_f32_e32 v15, -0.5, v42
	v_fmac_f32_e32 v14, -0.5, v38
	v_sub_f32_e32 v10, v39, v10
	s_delay_alu instid0(VALU_DEP_4) | instskip(SKIP_4) | instid1(VALU_DEP_2)
	v_dual_add_f32 v56, v56, v64 :: v_dual_add_f32 v17, v21, v17
	v_add_f32_e32 v42, v63, v66
	v_dual_add_f32 v12, v12, v13 :: v_dual_mul_f32 v13, 0.5, v59
	s_waitcnt lgkmcnt(0)
	s_barrier
	v_add_f32_e32 v25, v42, v25
	buffer_gl0_inv
	v_fmac_f32_e32 v13, 0x3f5db3d7, v19
	v_fmamk_f32 v42, v40, 0x3f5db3d7, v15
	v_fmac_f32_e32 v15, 0xbf5db3d7, v40
	v_fmamk_f32 v40, v10, 0x3f5db3d7, v14
	v_fmac_f32_e32 v14, 0xbf5db3d7, v10
	v_add_f32_e32 v10, v12, v11
	s_delay_alu instid0(VALU_DEP_4) | instskip(NEXT) | instid1(VALU_DEP_3)
	v_dual_add_f32 v61, v56, v25 :: v_dual_add_f32 v64, v15, v60
	v_dual_add_f32 v38, v40, v13 :: v_dual_add_f32 v39, v14, v18
	s_delay_alu instid0(VALU_DEP_3)
	v_add_f32_e32 v21, v17, v10
	v_add_f32_e32 v63, v42, v41
	v_sub_f32_e32 v11, v42, v41
	v_dual_sub_f32 v41, v17, v10 :: v_dual_sub_f32 v40, v40, v13
	v_dual_sub_f32 v42, v14, v18 :: v_dual_sub_f32 v25, v56, v25
	v_sub_f32_e32 v12, v15, v60
	ds_store_2addr_b32 v48, v58, v69 offset1:3
	ds_store_2addr_b32 v48, v70, v57 offset0:6 offset1:9
	ds_store_2addr_b32 v48, v62, v16 offset0:12 offset1:15
	ds_store_2addr_b32 v47, v61, v63 offset1:3
	ds_store_2addr_b32 v47, v64, v25 offset0:6 offset1:9
	ds_store_2addr_b32 v47, v11, v12 offset0:12 offset1:15
	s_and_saveexec_b32 s1, s0
	s_cbranch_execz .LBB0_29
; %bb.28:
	v_and_b32_e32 v10, 0xffff, v46
	s_delay_alu instid0(VALU_DEP_1) | instskip(NEXT) | instid1(VALU_DEP_1)
	v_lshlrev_b32_e32 v10, 2, v10
	v_add3_u32 v10, 0, v43, v10
	ds_store_2addr_b32 v10, v21, v38 offset1:3
	ds_store_2addr_b32 v10, v39, v41 offset0:6 offset1:9
	ds_store_2addr_b32 v10, v40, v42 offset0:12 offset1:15
.LBB0_29:
	s_or_b32 exec_lo, exec_lo, s1
	v_add_nc_u32_e32 v10, 0x400, v51
	v_add_nc_u32_e32 v11, 0x800, v51
	;; [unrolled: 1-line block ×5, first 2 shown]
	s_waitcnt lgkmcnt(0)
	s_barrier
	buffer_gl0_inv
	ds_load_2addr_b32 v[18:19], v10 offset0:32 offset1:140
	ds_load_2addr_b32 v[16:17], v11 offset0:64 offset1:172
	;; [unrolled: 1-line block ×5, first 2 shown]
	ds_load_b32 v26, v51
	ds_load_b32 v25, v44
	s_and_saveexec_b32 s1, s0
	s_cbranch_execz .LBB0_31
; %bb.30:
	ds_load_b32 v38, v51 offset:2016
	ds_load_b32 v39, v51 offset:3168
	;; [unrolled: 1-line block ×4, first 2 shown]
	ds_load_b32 v21, v45
	ds_load_b32 v42, v51 offset:6624
.LBB0_31:
	s_or_b32 exec_lo, exec_lo, s1
	v_mul_lo_u16 v34, v34, 57
	v_mul_lo_u16 v35, v35, 57
	v_mul_u32_u24_e32 v36, 0xe38f, v36
	s_delay_alu instid0(VALU_DEP_3) | instskip(NEXT) | instid1(VALU_DEP_3)
	v_lshrrev_b16 v34, 10, v34
	v_lshrrev_b16 v35, 10, v35
	s_delay_alu instid0(VALU_DEP_3) | instskip(NEXT) | instid1(VALU_DEP_3)
	v_lshrrev_b32_e32 v36, 20, v36
	v_mul_lo_u16 v43, v34, 18
	s_delay_alu instid0(VALU_DEP_3) | instskip(NEXT) | instid1(VALU_DEP_3)
	v_mul_lo_u16 v46, v35, 18
	v_mul_lo_u16 v48, v36, 18
	;; [unrolled: 1-line block ×3, first 2 shown]
	s_delay_alu instid0(VALU_DEP_4) | instskip(NEXT) | instid1(VALU_DEP_4)
	v_sub_nc_u16 v43, v50, v43
	v_sub_nc_u16 v46, v54, v46
	s_delay_alu instid0(VALU_DEP_4) | instskip(NEXT) | instid1(VALU_DEP_3)
	v_sub_nc_u16 v48, v55, v48
	v_and_b32_e32 v43, 0xff, v43
	s_delay_alu instid0(VALU_DEP_1) | instskip(NEXT) | instid1(VALU_DEP_1)
	v_mul_u32_u24_e32 v47, 5, v43
	v_lshlrev_b32_e32 v47, 3, v47
	s_clause 0x1
	global_load_b128 v[64:67], v47, s[8:9] offset:120
	global_load_b128 v[68:71], v47, s[8:9] offset:136
	v_and_b32_e32 v46, 0xff, v46
	global_load_b64 v[88:89], v47, s[8:9] offset:152
	v_and_b32_e32 v48, 0xffff, v48
	v_and_b32_e32 v34, 0xffff, v34
	v_mul_u32_u24_e32 v54, 5, v46
	s_delay_alu instid0(VALU_DEP_3) | instskip(NEXT) | instid1(VALU_DEP_3)
	v_mul_u32_u24_e32 v47, 5, v48
	v_mul_u32_u24_e32 v34, 0x1b0, v34
	s_delay_alu instid0(VALU_DEP_3)
	v_lshlrev_b32_e32 v54, 3, v54
	s_clause 0x1
	global_load_b128 v[72:75], v54, s[8:9] offset:120
	global_load_b128 v[76:79], v54, s[8:9] offset:136
	v_lshlrev_b32_e32 v47, 3, v47
	s_waitcnt vmcnt(1) lgkmcnt(6)
	v_dual_mul_f32 v62, v19, v73 :: v_dual_and_b32 v35, 0xffff, v35
	s_waitcnt vmcnt(0) lgkmcnt(4)
	v_mul_f32_e32 v94, v15, v77
	s_clause 0x3
	global_load_b64 v[90:91], v54, s[8:9] offset:152
	global_load_b128 v[80:83], v47, s[8:9] offset:120
	global_load_b128 v[84:87], v47, s[8:9] offset:136
	global_load_b64 v[92:93], v47, s[8:9] offset:152
	v_lshlrev_b32_e32 v47, 2, v43
	v_mul_u32_u24_e32 v35, 0x1b0, v35
	v_dual_mul_f32 v48, v8, v65 :: v_dual_lshlrev_b32 v43, 2, v48
	v_dual_mul_f32 v54, v6, v67 :: v_dual_mul_f32 v77, v5, v77
	s_waitcnt lgkmcnt(3)
	v_mul_f32_e32 v36, v13, v79
	v_mul_f32_e32 v79, v3, v79
	s_waitcnt vmcnt(0) lgkmcnt(0)
	s_barrier
	buffer_gl0_inv
	v_fmac_f32_e32 v62, v9, v72
	v_dual_fmac_f32 v94, v5, v76 :: v_dual_mul_f32 v95, v11, v91
	v_mul_f32_e32 v56, v38, v81
	v_add3_u32 v60, 0, v34, v47
	v_mul_f32_e32 v34, v18, v65
	v_dual_mul_f32 v65, v14, v69 :: v_dual_lshlrev_b32 v46, 2, v46
	v_mul_f32_e32 v47, v12, v71
	v_mul_f32_e32 v81, v32, v81
	v_dual_mul_f32 v91, v1, v91 :: v_dual_fmac_f32 v36, v3, v78
	s_delay_alu instid0(VALU_DEP_4)
	v_add3_u32 v59, 0, v35, v46
	v_mul_f32_e32 v46, v16, v67
	v_mul_f32_e32 v67, v4, v69
	;; [unrolled: 1-line block ×5, first 2 shown]
	v_dual_mul_f32 v35, v17, v75 :: v_dual_fmac_f32 v46, v6, v66
	v_mul_f32_e32 v61, v39, v83
	v_dual_mul_f32 v73, v9, v73 :: v_dual_fmac_f32 v34, v8, v64
	v_dual_mul_f32 v75, v7, v75 :: v_dual_mul_f32 v8, v24, v85
	v_dual_mul_f32 v83, v33, v83 :: v_dual_fmac_f32 v56, v32, v80
	v_mul_f32_e32 v63, v41, v85
	v_fma_f32 v18, v18, v64, -v48
	v_mul_f32_e32 v64, v27, v87
	v_fma_f32 v55, v16, v66, -v54
	v_mul_f32_e32 v6, v40, v87
	v_fmac_f32_e32 v65, v4, v68
	v_fma_f32 v54, v14, v68, -v67
	v_fma_f32 v16, v12, v70, -v69
	v_fmac_f32_e32 v47, v2, v70
	v_fma_f32 v48, v10, v88, -v89
	v_fma_f32 v12, v15, v76, -v77
	;; [unrolled: 1-line block ×3, first 2 shown]
	v_fmac_f32_e32 v35, v7, v74
	v_fmac_f32_e32 v95, v1, v90
	v_fma_f32 v2, v38, v80, -v81
	v_add_f32_e32 v38, v62, v94
	v_dual_mul_f32 v57, v42, v93 :: v_dual_fmac_f32 v6, v27, v86
	v_mul_f32_e32 v66, v37, v93
	v_fma_f32 v14, v17, v74, -v75
	v_fma_f32 v4, v39, v82, -v83
	;; [unrolled: 1-line block ×4, first 2 shown]
	v_sub_f32_e32 v8, v55, v16
	v_dual_add_f32 v17, v54, v48 :: v_dual_sub_f32 v40, v12, v11
	v_add_f32_e32 v32, v35, v36
	v_dual_fmac_f32 v71, v0, v88 :: v_dual_add_f32 v38, v38, v95
	v_add_f32_e32 v39, v94, v95
	v_fma_f32 v13, v13, v78, -v79
	v_fma_f32 v0, v42, v92, -v66
	v_add_f32_e32 v5, v23, v46
	s_delay_alu instid0(VALU_DEP_4)
	v_dual_add_f32 v9, v34, v65 :: v_dual_fmac_f32 v62, -0.5, v39
	v_add_f32_e32 v27, v22, v35
	v_sub_f32_e32 v42, v94, v95
	v_fmac_f32_e32 v22, -0.5, v32
	v_dual_fmac_f32 v63, v24, v84 :: v_dual_add_f32 v68, v5, v47
	v_fma_f32 v24, -0.5, v17, v18
	v_add_f32_e32 v15, v65, v71
	v_fmac_f32_e32 v57, v37, v92
	v_dual_add_f32 v7, v46, v47 :: v_dual_add_f32 v66, v3, v0
	s_delay_alu instid0(VALU_DEP_3) | instskip(NEXT) | instid1(VALU_DEP_3)
	v_dual_sub_f32 v37, v14, v13 :: v_dual_fmac_f32 v34, -0.5, v15
	v_dual_fmac_f32 v61, v33, v82 :: v_dual_add_f32 v64, v63, v57
	v_fmamk_f32 v15, v40, 0xbf5db3d7, v62
	v_dual_fmac_f32 v62, 0x3f5db3d7, v40 :: v_dual_sub_f32 v33, v65, v71
	v_fma_f32 v10, v19, v72, -v73
	v_sub_f32_e32 v65, v3, v0
	v_fma_f32 v5, -0.5, v64, v56
	v_dual_add_f32 v41, v12, v11 :: v_dual_fmamk_f32 v64, v37, 0xbf5db3d7, v22
	v_dual_fmac_f32 v22, 0x3f5db3d7, v37 :: v_dual_sub_f32 v19, v54, v48
	v_fmamk_f32 v32, v33, 0x3f5db3d7, v24
	v_dual_fmac_f32 v24, 0xbf5db3d7, v33 :: v_dual_fmac_f32 v23, -0.5, v7
	v_sub_f32_e32 v67, v63, v57
	v_fma_f32 v7, -0.5, v66, v2
	s_delay_alu instid0(VALU_DEP_4)
	v_mul_f32_e32 v40, 0xbf5db3d7, v32
	v_add_f32_e32 v69, v27, v36
	v_fmamk_f32 v39, v8, 0xbf5db3d7, v23
	v_fmac_f32_e32 v23, 0x3f5db3d7, v8
	v_fmamk_f32 v8, v65, 0xbf5db3d7, v5
	v_fma_f32 v17, -0.5, v41, v10
	v_fmamk_f32 v27, v19, 0xbf5db3d7, v34
	s_delay_alu instid0(VALU_DEP_2) | instskip(SKIP_2) | instid1(VALU_DEP_4)
	v_dual_fmac_f32 v34, 0x3f5db3d7, v19 :: v_dual_fmamk_f32 v19, v42, 0x3f5db3d7, v17
	v_dual_fmac_f32 v17, 0xbf5db3d7, v42 :: v_dual_mul_f32 v42, 0xbf5db3d7, v24
	v_add_f32_e32 v9, v9, v71
	v_dual_fmac_f32 v40, 0.5, v27 :: v_dual_add_f32 v37, v69, v38
	s_delay_alu instid0(VALU_DEP_3) | instskip(NEXT) | instid1(VALU_DEP_4)
	v_mul_f32_e32 v66, 0xbf5db3d7, v17
	v_dual_fmac_f32 v42, -0.5, v34 :: v_dual_fmac_f32 v5, 0x3f5db3d7, v65
	v_dual_mul_f32 v65, 0xbf5db3d7, v19 :: v_dual_sub_f32 v38, v69, v38
	s_delay_alu instid0(VALU_DEP_3) | instskip(NEXT) | instid1(VALU_DEP_3)
	v_dual_fmac_f32 v66, -0.5, v62 :: v_dual_add_f32 v33, v68, v9
	v_dual_sub_f32 v41, v68, v9 :: v_dual_add_f32 v68, v23, v42
	v_sub_f32_e32 v23, v23, v42
	s_delay_alu instid0(VALU_DEP_3) | instskip(SKIP_4) | instid1(VALU_DEP_4)
	v_add_f32_e32 v42, v22, v66
	v_dual_sub_f32 v22, v22, v66 :: v_dual_fmac_f32 v65, 0.5, v15
	v_fmamk_f32 v9, v67, 0x3f5db3d7, v7
	v_fmac_f32_e32 v7, 0xbf5db3d7, v67
	v_add_f32_e32 v67, v39, v40
	v_dual_sub_f32 v39, v39, v40 :: v_dual_add_f32 v40, v64, v65
	v_sub_f32_e32 v64, v64, v65
	ds_store_2addr_b32 v60, v33, v67 offset1:18
	ds_store_2addr_b32 v60, v68, v41 offset0:36 offset1:54
	ds_store_2addr_b32 v60, v39, v23 offset0:72 offset1:90
	ds_store_2addr_b32 v59, v37, v40 offset1:18
	ds_store_2addr_b32 v59, v42, v38 offset0:36 offset1:54
	ds_store_2addr_b32 v59, v64, v22 offset0:72 offset1:90
	s_and_saveexec_b32 s1, s0
	s_cbranch_execz .LBB0_33
; %bb.32:
	v_dual_add_f32 v22, v61, v6 :: v_dual_sub_f32 v23, v4, v1
	v_dual_mul_f32 v33, 0xbf5db3d7, v7 :: v_dual_add_f32 v38, v20, v61
	v_mul_f32_e32 v37, 0xbf5db3d7, v9
	s_delay_alu instid0(VALU_DEP_3) | instskip(SKIP_1) | instid1(VALU_DEP_4)
	v_fma_f32 v20, -0.5, v22, v20
	v_dual_add_f32 v22, v56, v63 :: v_dual_and_b32 v39, 0xffff, v58
	v_fmac_f32_e32 v33, -0.5, v5
	s_delay_alu instid0(VALU_DEP_4) | instskip(NEXT) | instid1(VALU_DEP_4)
	v_dual_fmac_f32 v37, 0.5, v8 :: v_dual_add_f32 v38, v38, v6
	v_fmamk_f32 v40, v23, 0x3f5db3d7, v20
	s_delay_alu instid0(VALU_DEP_4) | instskip(SKIP_2) | instid1(VALU_DEP_4)
	v_add_f32_e32 v22, v22, v57
	v_fmac_f32_e32 v20, 0xbf5db3d7, v23
	v_lshlrev_b32_e32 v23, 2, v39
	v_sub_f32_e32 v39, v40, v33
	s_delay_alu instid0(VALU_DEP_3)
	v_dual_sub_f32 v41, v38, v22 :: v_dual_add_f32 v42, v20, v37
	v_sub_f32_e32 v20, v20, v37
	v_dual_add_f32 v22, v38, v22 :: v_dual_add_f32 v33, v40, v33
	v_add3_u32 v23, 0, v43, v23
	ds_store_2addr_b32 v23, v22, v42 offset1:18
	ds_store_2addr_b32 v23, v33, v41 offset0:36 offset1:54
	ds_store_2addr_b32 v23, v20, v39 offset0:72 offset1:90
.LBB0_33:
	s_or_b32 exec_lo, exec_lo, s1
	v_dual_add_f32 v20, v55, v16 :: v_dual_sub_f32 v23, v46, v47
	v_add_f32_e32 v18, v18, v54
	v_add_f32_e32 v10, v10, v12
	v_lshl_add_u32 v56, v53, 2, 0
	v_lshl_add_u32 v57, v50, 2, 0
	v_add_nc_u32_e32 v40, 0x1600, v51
	v_add_f32_e32 v18, v18, v48
	v_add_f32_e32 v22, v26, v55
	v_fmac_f32_e32 v26, -0.5, v20
	v_mul_f32_e32 v20, -0.5, v24
	v_add_f32_e32 v24, v14, v13
	v_add_f32_e32 v14, v25, v14
	v_mul_f32_e32 v42, 0.5, v32
	v_add_f32_e32 v16, v22, v16
	s_delay_alu instid0(VALU_DEP_4) | instskip(SKIP_3) | instid1(VALU_DEP_3)
	v_dual_add_f32 v10, v10, v11 :: v_dual_fmac_f32 v25, -0.5, v24
	v_dual_mul_f32 v11, 0.5, v19 :: v_dual_fmamk_f32 v22, v23, 0x3f5db3d7, v26
	v_dual_sub_f32 v24, v35, v36 :: v_dual_add_f32 v13, v14, v13
	v_add_nc_u32_e32 v19, 0x1000, v51
	v_fmac_f32_e32 v11, 0x3f5db3d7, v15
	v_lshl_add_u32 v55, v52, 2, 0
	s_delay_alu instid0(VALU_DEP_4)
	v_fmamk_f32 v14, v24, 0x3f5db3d7, v25
	v_fmac_f32_e32 v20, 0x3f5db3d7, v34
	v_fmac_f32_e32 v42, 0x3f5db3d7, v27
	v_dual_sub_f32 v12, v16, v18 :: v_dual_fmac_f32 v25, 0xbf5db3d7, v24
	v_add_nc_u32_e32 v24, 0x1400, v51
	s_waitcnt lgkmcnt(0)
	s_delay_alu instid0(VALU_DEP_3)
	v_dual_add_f32 v27, v22, v42 :: v_dual_fmac_f32 v26, 0xbf5db3d7, v23
	v_dual_add_f32 v23, v16, v18 :: v_dual_mul_f32 v16, -0.5, v17
	v_add_nc_u32_e32 v17, 0x800, v51
	v_add_nc_u32_e32 v18, 0xc00, v51
	s_barrier
	buffer_gl0_inv
	ds_load_b32 v52, v45
	ds_load_b32 v46, v51
	;; [unrolled: 1-line block ×5, first 2 shown]
	ds_load_b32 v54, v57 offset:2160
	ds_load_2addr_b32 v[38:39], v17 offset0:136 offset1:244
	ds_load_2addr_b32 v[32:33], v18 offset0:96 offset1:204
	;; [unrolled: 1-line block ×5, first 2 shown]
	v_dual_fmac_f32 v16, 0x3f5db3d7, v62 :: v_dual_add_f32 v19, v14, v11
	v_add_f32_e32 v63, v26, v20
	v_sub_f32_e32 v15, v22, v42
	v_dual_sub_f32 v17, v26, v20 :: v_dual_add_f32 v18, v13, v10
	s_delay_alu instid0(VALU_DEP_4)
	v_add_f32_e32 v20, v25, v16
	v_dual_sub_f32 v10, v13, v10 :: v_dual_sub_f32 v11, v14, v11
	v_sub_f32_e32 v13, v25, v16
	s_waitcnt lgkmcnt(0)
	s_barrier
	buffer_gl0_inv
	ds_store_2addr_b32 v60, v23, v27 offset1:18
	ds_store_2addr_b32 v60, v63, v12 offset0:36 offset1:54
	ds_store_2addr_b32 v60, v15, v17 offset0:72 offset1:90
	ds_store_2addr_b32 v59, v18, v19 offset1:18
	ds_store_2addr_b32 v59, v20, v10 offset0:36 offset1:54
	ds_store_2addr_b32 v59, v11, v13 offset0:72 offset1:90
	s_and_saveexec_b32 s1, s0
	s_cbranch_execz .LBB0_35
; %bb.34:
	v_dual_add_f32 v10, v4, v1 :: v_dual_mul_f32 v7, -0.5, v7
	v_add_f32_e32 v4, v21, v4
	v_sub_f32_e32 v6, v61, v6
	s_delay_alu instid0(VALU_DEP_3) | instskip(SKIP_2) | instid1(VALU_DEP_3)
	v_dual_add_f32 v2, v2, v3 :: v_dual_fmac_f32 v21, -0.5, v10
	v_mul_f32_e32 v3, 0.5, v9
	v_and_b32_e32 v9, 0xffff, v58
	v_dual_add_f32 v1, v4, v1 :: v_dual_add_f32 v0, v2, v0
	v_fmac_f32_e32 v7, 0x3f5db3d7, v5
	v_fmamk_f32 v4, v6, 0x3f5db3d7, v21
	v_fmamk_f32 v6, v6, 0xbf5db3d7, v21
	v_dual_fmac_f32 v3, 0x3f5db3d7, v8 :: v_dual_lshlrev_b32 v2, 2, v9
	v_add_f32_e32 v5, v1, v0
	s_delay_alu instid0(VALU_DEP_3) | instskip(NEXT) | instid1(VALU_DEP_3)
	v_dual_sub_f32 v0, v1, v0 :: v_dual_add_f32 v9, v6, v7
	v_add_f32_e32 v8, v4, v3
	s_delay_alu instid0(VALU_DEP_4)
	v_add3_u32 v1, 0, v43, v2
	v_sub_f32_e32 v2, v4, v3
	v_sub_f32_e32 v3, v6, v7
	ds_store_2addr_b32 v1, v5, v8 offset1:18
	ds_store_2addr_b32 v1, v9, v0 offset0:36 offset1:54
	ds_store_2addr_b32 v1, v2, v3 offset0:72 offset1:90
.LBB0_35:
	s_or_b32 exec_lo, exec_lo, s1
	s_waitcnt lgkmcnt(0)
	s_barrier
	buffer_gl0_inv
	s_and_saveexec_b32 s0, vcc_lo
	s_cbranch_execz .LBB0_37
; %bb.36:
	v_mul_u32_u24_e32 v0, 15, v50
	v_mad_u64_u32 v[60:61], null, s12, v49, 0
	v_mul_lo_u32 v76, s2, v31
	v_mul_lo_u32 v50, s3, v30
	s_delay_alu instid0(VALU_DEP_4)
	v_lshlrev_b32_e32 v20, 3, v0
	v_mad_u64_u32 v[58:59], null, s2, v30, 0
	v_add_nc_u32_e32 v79, 0x6c, v49
	v_mov_b32_e32 v31, v61
	s_clause 0x7
	global_load_b128 v[24:27], v20, s[8:9] offset:872
	global_load_b128 v[0:3], v20, s[8:9] offset:840
	global_load_b128 v[8:11], v20, s[8:9] offset:904
	global_load_b128 v[16:19], v20, s[8:9] offset:936
	global_load_b64 v[42:43], v20, s[8:9] offset:952
	global_load_b128 v[4:7], v20, s[8:9] offset:888
	global_load_b128 v[12:15], v20, s[8:9] offset:920
	;; [unrolled: 1-line block ×3, first 2 shown]
	v_add_nc_u32_e32 v80, 0xd8, v49
	v_add_nc_u32_e32 v81, 0x144, v49
	v_mad_u64_u32 v[62:63], null, s12, v79, 0
	v_add_nc_u32_e32 v82, 0x1b0, v49
	s_delay_alu instid0(VALU_DEP_4)
	v_mad_u64_u32 v[64:65], null, s12, v80, 0
	v_add3_u32 v59, v59, v76, v50
	v_mad_u64_u32 v[76:77], null, s13, v49, v[31:32]
	v_mad_u64_u32 v[66:67], null, s12, v81, 0
	v_add_nc_u32_e32 v86, 0x21c, v49
	v_mad_u64_u32 v[68:69], null, s12, v82, 0
	ds_load_b32 v30, v45
	v_dual_mov_b32 v61, v76 :: v_dual_add_nc_u32 v84, 0x800, v51
	v_mov_b32_e32 v45, v63
	v_mov_b32_e32 v31, v65
	v_mad_u64_u32 v[70:71], null, s12, v86, 0
	v_dual_mov_b32 v50, v67 :: v_dual_add_nc_u32 v83, 0x1000, v51
	s_delay_alu instid0(VALU_DEP_4)
	v_mad_u64_u32 v[77:78], null, s13, v79, v[45:46]
	v_add_nc_u32_e32 v87, 0x288, v49
	v_add_nc_u32_e32 v88, 0x2f4, v49
	v_mad_u64_u32 v[78:79], null, s13, v80, v[31:32]
	v_mov_b32_e32 v31, v69
	v_lshlrev_b64 v[58:59], 3, v[58:59]
	v_mad_u64_u32 v[79:80], null, s13, v81, v[50:51]
	v_lshlrev_b64 v[28:29], 3, v[28:29]
	v_add_nc_u32_e32 v89, 0x360, v49
	v_mad_u64_u32 v[72:73], null, s12, v87, 0
	v_mad_u64_u32 v[80:81], null, s13, v82, v[31:32]
	v_mov_b32_e32 v31, v71
	v_mad_u64_u32 v[74:75], null, s12, v88, 0
	v_add_co_u32 v45, vcc_lo, s6, v58
	v_add_co_ci_u32_e32 v50, vcc_lo, s7, v59, vcc_lo
	v_mad_u64_u32 v[58:59], null, s12, v89, 0
	s_delay_alu instid0(VALU_DEP_3) | instskip(SKIP_1) | instid1(VALU_DEP_4)
	v_add_co_u32 v90, vcc_lo, v45, v28
	v_dual_mov_b32 v28, v73 :: v_dual_add_nc_u32 v85, 0x1600, v51
	v_add_co_ci_u32_e32 v91, vcc_lo, v50, v29, vcc_lo
	v_mov_b32_e32 v29, v75
	v_mov_b32_e32 v63, v77
	v_dual_mov_b32 v65, v78 :: v_dual_add_nc_u32 v94, 0x4a4, v49
	v_mad_u64_u32 v[81:82], null, s13, v86, v[31:32]
	s_delay_alu instid0(VALU_DEP_4)
	v_mad_u64_u32 v[75:76], null, s13, v87, v[28:29]
	v_mov_b32_e32 v28, v59
	s_waitcnt lgkmcnt(0)
	v_mad_u64_u32 v[76:77], null, s13, v88, v[29:30]
	ds_load_b32 v86, v51
	v_add_nc_u32_e32 v82, 0xc00, v51
	v_mad_u64_u32 v[77:78], null, s13, v89, v[28:29]
	v_add_nc_u32_e32 v78, 0x438, v49
	v_add_nc_u32_e32 v87, 0x1400, v51
	ds_load_b32 v88, v44
	ds_load_b32 v89, v57 offset:2160
	v_add_nc_u32_e32 v59, 0x3cc, v49
	ds_load_b32 v92, v56
	ds_load_b32 v93, v55
	v_mad_u64_u32 v[50:51], null, s12, v78, 0
	v_mov_b32_e32 v67, v79
	v_mad_u64_u32 v[28:29], null, s12, v59, 0
	v_mov_b32_e32 v69, v80
	v_mov_b32_e32 v71, v81
	;; [unrolled: 1-line block ×5, first 2 shown]
	v_lshlrev_b64 v[60:61], 3, v[60:61]
	v_mad_u64_u32 v[44:45], null, s13, v59, v[29:30]
	s_delay_alu instid0(VALU_DEP_4)
	v_mad_u64_u32 v[55:56], null, s13, v78, v[31:32]
	ds_load_2addr_b32 v[56:57], v83 offset0:56 offset1:164
	ds_load_2addr_b32 v[78:79], v84 offset0:136 offset1:244
	;; [unrolled: 1-line block ×3, first 2 shown]
	v_mov_b32_e32 v59, v77
	v_add_co_u32 v60, vcc_lo, v90, v60
	v_add_co_ci_u32_e32 v61, vcc_lo, v91, v61, vcc_lo
	v_mov_b32_e32 v51, v55
	s_waitcnt vmcnt(7)
	v_mul_f32_e32 v31, v54, v24
	v_mul_f32_e32 v54, v54, v25
	s_waitcnt lgkmcnt(5)
	s_delay_alu instid0(VALU_DEP_2)
	v_fmac_f32_e32 v31, v89, v25
	s_waitcnt vmcnt(5)
	v_mul_f32_e32 v25, v34, v11
	v_fma_f32 v24, v89, v24, -v54
	s_waitcnt vmcnt(2)
	v_mul_f32_e32 v54, v32, v7
	s_waitcnt lgkmcnt(2)
	v_mul_f32_e32 v11, v56, v11
	v_fma_f32 v25, v56, v10, -v25
	v_mov_b32_e32 v29, v44
	v_lshlrev_b64 v[44:45], 3, v[62:63]
	v_lshlrev_b64 v[62:63], 3, v[64:65]
	;; [unrolled: 1-line block ×7, first 2 shown]
	v_mul_f32_e32 v74, v38, v26
	v_mul_f32_e32 v38, v38, v27
	v_fmac_f32_e32 v11, v34, v10
	v_add_co_u32 v44, vcc_lo, v90, v44
	s_waitcnt lgkmcnt(1)
	v_fmac_f32_e32 v74, v78, v27
	v_fma_f32 v26, v78, v26, -v38
	v_mul_f32_e32 v38, v41, v42
	v_mul_f32_e32 v41, v41, v43
	v_add_co_ci_u32_e32 v45, vcc_lo, v91, v45, vcc_lo
	v_add_co_u32 v62, vcc_lo, v90, v62
	s_waitcnt lgkmcnt(0)
	s_delay_alu instid0(VALU_DEP_3) | instskip(SKIP_3) | instid1(VALU_DEP_3)
	v_fma_f32 v41, v81, v42, -v41
	v_mul_f32_e32 v42, v30, v3
	v_dual_fmac_f32 v38, v81, v43 :: v_dual_mul_f32 v43, v39, v4
	v_add_co_ci_u32_e32 v63, vcc_lo, v91, v63, vcc_lo
	v_fmac_f32_e32 v42, v52, v2
	ds_load_2addr_b32 v[76:77], v82 offset0:96 offset1:204
	ds_load_2addr_b32 v[82:83], v87 offset0:16 offset1:124
	v_fmac_f32_e32 v43, v79, v5
	v_add_co_u32 v64, vcc_lo, v90, v64
	v_sub_f32_e32 v11, v42, v11
	v_mul_f32_e32 v27, v40, v18
	v_mul_f32_e32 v40, v40, v19
	v_add_co_ci_u32_e32 v65, vcc_lo, v91, v65, vcc_lo
	v_add_co_u32 v66, vcc_lo, v90, v66
	s_delay_alu instid0(VALU_DEP_3)
	v_fma_f32 v18, v80, v18, -v40
	v_add_co_ci_u32_e32 v67, vcc_lo, v91, v67, vcc_lo
	v_add_co_u32 v68, vcc_lo, v90, v68
	v_add_co_ci_u32_e32 v69, vcc_lo, v91, v69, vcc_lo
	v_add_co_u32 v70, vcc_lo, v90, v70
	s_waitcnt lgkmcnt(1)
	v_fma_f32 v40, v76, v6, -v54
	v_mul_f32_e32 v55, v52, v3
	v_mul_f32_e32 v3, v39, v5
	;; [unrolled: 1-line block ×5, first 2 shown]
	s_waitcnt vmcnt(1)
	v_mul_f32_e32 v39, v35, v13
	v_mul_f32_e32 v13, v57, v13
	s_waitcnt lgkmcnt(0)
	v_fmac_f32_e32 v5, v83, v17
	v_fma_f32 v10, v83, v16, -v37
	v_sub_f32_e32 v16, v26, v18
	v_fmac_f32_e32 v7, v32, v6
	v_fma_f32 v4, v79, v4, -v3
	v_mul_f32_e32 v3, v33, v9
	v_fma_f32 v39, v57, v12, -v39
	v_dual_add_f32 v32, v11, v16 :: v_dual_fmac_f32 v27, v80, v19
	v_mul_f32_e32 v9, v77, v9
	v_fmac_f32_e32 v13, v35, v12
	v_fma_f32 v54, v77, v8, -v3
	v_mul_f32_e32 v52, v47, v1
	v_dual_sub_f32 v12, v74, v27 :: v_dual_sub_f32 v5, v31, v5
	v_mul_f32_e32 v75, v36, v14
	v_dual_mul_f32 v36, v36, v15 :: v_dual_fmac_f32 v9, v33, v8
	v_dual_mul_f32 v1, v88, v1 :: v_dual_sub_f32 v18, v43, v38
	v_sub_f32_e32 v7, v46, v7
	s_delay_alu instid0(VALU_DEP_3) | instskip(SKIP_1) | instid1(VALU_DEP_4)
	v_fma_f32 v8, v82, v14, -v36
	v_sub_f32_e32 v14, v86, v40
	v_fmac_f32_e32 v1, v47, v0
	v_fma_f32 v30, v30, v2, -v55
	v_sub_f32_e32 v10, v24, v10
	v_fma_f32 v16, v26, 2.0, -v16
	v_fma_f32 v38, v86, 2.0, -v14
	s_waitcnt vmcnt(0)
	v_mul_f32_e32 v19, v53, v21
	v_sub_f32_e32 v9, v1, v9
	v_mul_f32_e32 v21, v93, v21
	v_sub_f32_e32 v6, v30, v25
	v_lshlrev_b64 v[58:59], 3, v[58:59]
	v_fma_f32 v19, v93, v20, -v19
	v_fma_f32 v1, v1, 2.0, -v9
	v_mul_f32_e32 v55, v48, v22
	v_dual_mul_f32 v48, v48, v23 :: v_dual_sub_f32 v25, v6, v12
	s_delay_alu instid0(VALU_DEP_4)
	v_sub_f32_e32 v17, v19, v39
	v_fma_f32 v12, v74, 2.0, -v12
	v_add_f32_e32 v36, v9, v10
	v_fma_f32 v10, v24, 2.0, -v10
	v_fma_f32 v24, v46, 2.0, -v7
	v_sub_f32_e32 v33, v17, v18
	v_fma_f32 v19, v19, 2.0, -v17
	v_add_co_ci_u32_e32 v71, vcc_lo, v91, v71, vcc_lo
	v_add_co_u32 v72, vcc_lo, v90, v72
	s_delay_alu instid0(VALU_DEP_4) | instskip(SKIP_4) | instid1(VALU_DEP_3)
	v_fma_f32 v17, v17, 2.0, -v33
	v_fmac_f32_e32 v21, v53, v20
	v_fma_f32 v20, v88, v0, -v52
	v_fma_f32 v0, v92, v22, -v48
	v_add_co_ci_u32_e32 v73, vcc_lo, v91, v73, vcc_lo
	v_dual_sub_f32 v13, v21, v13 :: v_dual_sub_f32 v22, v20, v54
	s_delay_alu instid0(VALU_DEP_3) | instskip(SKIP_1) | instid1(VALU_DEP_3)
	v_sub_f32_e32 v8, v0, v8
	v_add_co_u32 v58, vcc_lo, v90, v58
	v_fma_f32 v21, v21, 2.0, -v13
	s_delay_alu instid0(VALU_DEP_3) | instskip(SKIP_4) | instid1(VALU_DEP_4)
	v_dual_sub_f32 v34, v22, v5 :: v_dual_add_f32 v37, v7, v8
	v_fma_f32 v0, v0, 2.0, -v8
	v_fma_f32 v8, v42, 2.0, -v11
	;; [unrolled: 1-line block ×4, first 2 shown]
	v_dual_fmamk_f32 v39, v32, 0x3f3504f3, v37 :: v_dual_sub_f32 v40, v38, v0
	s_delay_alu instid0(VALU_DEP_4) | instskip(SKIP_1) | instid1(VALU_DEP_3)
	v_sub_f32_e32 v0, v8, v12
	v_fma_f32 v18, v43, 2.0, -v18
	v_dual_sub_f32 v10, v20, v10 :: v_dual_fmac_f32 v39, 0x3f3504f3, v25
	s_delay_alu instid0(VALU_DEP_4) | instskip(NEXT) | instid1(VALU_DEP_4)
	v_fma_f32 v38, v38, 2.0, -v40
	v_fma_f32 v8, v8, 2.0, -v0
	s_delay_alu instid0(VALU_DEP_4) | instskip(SKIP_3) | instid1(VALU_DEP_4)
	v_sub_f32_e32 v12, v21, v18
	v_dual_sub_f32 v18, v1, v5 :: v_dual_fmac_f32 v55, v92, v23
	v_sub_f32_e32 v23, v4, v41
	v_fma_f32 v41, v7, 2.0, -v37
	v_sub_f32_e32 v7, v10, v12
	v_fma_f32 v37, v37, 2.0, -v39
	v_fma_f32 v20, v20, 2.0, -v10
	v_add_f32_e32 v35, v13, v23
	v_fma_f32 v4, v4, 2.0, -v23
	v_fma_f32 v23, v30, 2.0, -v6
	;; [unrolled: 1-line block ×4, first 2 shown]
	v_fmamk_f32 v31, v35, 0x3f3504f3, v36
	v_sub_f32_e32 v4, v19, v4
	v_sub_f32_e32 v5, v23, v16
	v_fma_f32 v16, v22, 2.0, -v34
	v_fma_f32 v22, v9, 2.0, -v36
	v_fmac_f32_e32 v31, 0x3f3504f3, v33
	v_fma_f32 v13, v13, 2.0, -v35
	v_add_f32_e32 v9, v4, v18
	v_dual_fmac_f32 v75, v82, v15 :: v_dual_fmamk_f32 v30, v33, 0x3f3504f3, v34
	s_delay_alu instid0(VALU_DEP_4) | instskip(NEXT) | instid1(VALU_DEP_4)
	v_fma_f32 v36, v36, 2.0, -v31
	v_fmamk_f32 v42, v13, 0xbf3504f3, v22
	v_fma_f32 v23, v23, 2.0, -v5
	v_fma_f32 v46, v1, 2.0, -v18
	v_fmac_f32_e32 v30, 0xbf3504f3, v35
	v_fmamk_f32 v10, v36, 0xbec3ef15, v37
	v_fma_f32 v11, v11, 2.0, -v32
	v_fmac_f32_e32 v42, 0x3f3504f3, v17
	v_fmamk_f32 v35, v17, 0xbf3504f3, v16
	v_fma_f32 v12, v21, 2.0, -v12
	v_fma_f32 v19, v19, 2.0, -v4
	v_fmamk_f32 v43, v11, 0xbf3504f3, v41
	v_sub_f32_e32 v23, v38, v23
	v_fmac_f32_e32 v35, 0xbf3504f3, v13
	v_sub_f32_e32 v17, v46, v12
	v_sub_f32_e32 v19, v20, v19
	v_fmac_f32_e32 v43, 0x3f3504f3, v6
	v_sub_f32_e32 v15, v55, v75
	v_fma_f32 v34, v34, 2.0, -v30
	v_fma_f32 v53, v22, 2.0, -v42
	;; [unrolled: 1-line block ×4, first 2 shown]
	v_sub_f32_e32 v27, v14, v15
	v_fma_f32 v38, v38, 2.0, -v23
	v_fma_f32 v22, v20, 2.0, -v19
	;; [unrolled: 1-line block ×3, first 2 shown]
	v_fmamk_f32 v20, v53, 0xbf6c835e, v41
	v_fma_f32 v14, v14, 2.0, -v27
	v_dual_fmamk_f32 v26, v25, 0x3f3504f3, v27 :: v_dual_sub_f32 v25, v40, v0
	v_fmamk_f32 v0, v31, 0x3f6c835e, v39
	v_fmac_f32_e32 v10, 0x3f6c835e, v34
	s_delay_alu instid0(VALU_DEP_4)
	v_fmamk_f32 v33, v6, 0xbf3504f3, v14
	v_fmamk_f32 v6, v42, 0x3ec3ef15, v43
	v_fma_f32 v15, v55, 2.0, -v15
	v_fmac_f32_e32 v26, 0xbf3504f3, v32
	v_fmac_f32_e32 v0, 0x3ec3ef15, v30
	;; [unrolled: 1-line block ×3, first 2 shown]
	v_fma_f32 v40, v40, 2.0, -v25
	v_sub_f32_e32 v15, v24, v15
	v_fmamk_f32 v1, v30, 0x3f6c835e, v26
	v_fma_f32 v27, v27, 2.0, -v26
	v_fma_f32 v30, v14, 2.0, -v33
	s_delay_alu instid0(VALU_DEP_4)
	v_dual_fmamk_f32 v13, v47, 0xbf3504f3, v40 :: v_dual_add_f32 v32, v5, v15
	v_fma_f32 v21, v24, 2.0, -v15
	v_fmamk_f32 v5, v7, 0x3f3504f3, v25
	v_fmac_f32_e32 v1, 0xbec3ef15, v31
	v_fma_f32 v31, v16, 2.0, -v35
	v_fmamk_f32 v4, v9, 0x3f3504f3, v32
	v_sub_f32_e32 v24, v21, v8
	v_fma_f32 v52, v15, 2.0, -v32
	v_fmac_f32_e32 v5, 0xbf3504f3, v9
	s_delay_alu instid0(VALU_DEP_4)
	v_dual_sub_f32 v9, v23, v17 :: v_dual_fmac_f32 v4, 0x3f3504f3, v7
	v_fmamk_f32 v7, v35, 0x3ec3ef15, v33
	v_fma_f32 v54, v21, 2.0, -v24
	v_fmamk_f32 v21, v31, 0xbf6c835e, v30
	v_fmamk_f32 v12, v48, 0xbf3504f3, v52
	v_dual_fmamk_f32 v11, v34, 0xbec3ef15, v27 :: v_dual_add_f32 v8, v24, v19
	v_fmac_f32_e32 v7, 0xbf6c835e, v42
	v_fma_f32 v19, v23, 2.0, -v9
	v_sub_f32_e32 v23, v38, v22
	v_dual_sub_f32 v22, v54, v46 :: v_dual_fmac_f32 v21, 0xbec3ef15, v53
	v_fmac_f32_e32 v20, 0x3ec3ef15, v31
	v_fmac_f32_e32 v13, 0xbf3504f3, v48
	;; [unrolled: 1-line block ×4, first 2 shown]
	v_fma_f32 v17, v25, 2.0, -v5
	v_fma_f32 v16, v32, 2.0, -v4
	v_fmac_f32_e32 v6, 0x3f6c835e, v35
	v_fma_f32 v25, v33, 2.0, -v7
	v_fma_f32 v33, v38, 2.0, -v23
	;; [unrolled: 1-line block ×10, first 2 shown]
	v_lshlrev_b64 v[28:29], 3, v[28:29]
	v_fma_f32 v18, v24, 2.0, -v8
	v_add_co_ci_u32_e32 v59, vcc_lo, v91, v59, vcc_lo
	v_fma_f32 v14, v39, 2.0, -v0
	v_fma_f32 v24, v43, 2.0, -v6
	s_clause 0x8
	global_store_b64 v[60:61], v[32:33], off
	global_store_b64 v[44:45], v[34:35], off
	;; [unrolled: 1-line block ×9, first 2 shown]
	v_add_nc_u32_e32 v23, 0x510, v49
	v_add_nc_u32_e32 v26, 0x57c, v49
	v_mad_u64_u32 v[2:3], null, s12, v94, 0
	v_add_co_u32 v28, vcc_lo, v90, v28
	s_delay_alu instid0(VALU_DEP_4) | instskip(NEXT) | instid1(VALU_DEP_4)
	v_mad_u64_u32 v[16:17], null, s12, v23, 0
	v_mad_u64_u32 v[18:19], null, s12, v26, 0
	v_add_co_ci_u32_e32 v29, vcc_lo, v91, v29, vcc_lo
	v_lshlrev_b64 v[14:15], 3, v[50:51]
	v_add_nc_u32_e32 v27, 0x5e8, v49
	global_store_b64 v[28:29], v[20:21], off
	v_mad_u64_u32 v[20:21], null, s13, v94, v[3:4]
	v_mad_u64_u32 v[21:22], null, s13, v23, v[17:18]
	;; [unrolled: 1-line block ×3, first 2 shown]
	v_add_co_u32 v14, vcc_lo, v90, v14
	v_mov_b32_e32 v3, v19
	v_add_co_ci_u32_e32 v15, vcc_lo, v91, v15, vcc_lo
	v_dual_mov_b32 v17, v21 :: v_dual_add_nc_u32 v28, 0x654, v49
	s_delay_alu instid0(VALU_DEP_3) | instskip(SKIP_4) | instid1(VALU_DEP_2)
	v_mad_u64_u32 v[24:25], null, s13, v26, v[3:4]
	global_store_b64 v[14:15], v[12:13], off
	v_mad_u64_u32 v[25:26], null, s12, v28, 0
	v_dual_mov_b32 v12, v23 :: v_dual_mov_b32 v3, v20
	v_mov_b32_e32 v19, v24
	v_mad_u64_u32 v[13:14], null, s13, v27, v[12:13]
	s_delay_alu instid0(VALU_DEP_4) | instskip(NEXT) | instid1(VALU_DEP_4)
	v_mov_b32_e32 v12, v26
	v_lshlrev_b64 v[2:3], 3, v[2:3]
	v_lshlrev_b64 v[14:15], 3, v[16:17]
	s_delay_alu instid0(VALU_DEP_3) | instskip(NEXT) | instid1(VALU_DEP_3)
	v_mad_u64_u32 v[16:17], null, s13, v28, v[12:13]
	v_add_co_u32 v2, vcc_lo, v90, v2
	v_lshlrev_b64 v[17:18], 3, v[18:19]
	v_mov_b32_e32 v23, v13
	v_add_co_ci_u32_e32 v3, vcc_lo, v91, v3, vcc_lo
	v_mov_b32_e32 v26, v16
	v_add_co_u32 v12, vcc_lo, v90, v14
	v_add_co_ci_u32_e32 v13, vcc_lo, v91, v15, vcc_lo
	v_lshlrev_b64 v[14:15], 3, v[22:23]
	v_add_co_u32 v16, vcc_lo, v90, v17
	v_add_co_ci_u32_e32 v17, vcc_lo, v91, v18, vcc_lo
	v_lshlrev_b64 v[18:19], 3, v[25:26]
	s_delay_alu instid0(VALU_DEP_4) | instskip(SKIP_1) | instid1(VALU_DEP_3)
	v_add_co_u32 v14, vcc_lo, v90, v14
	v_add_co_ci_u32_e32 v15, vcc_lo, v91, v15, vcc_lo
	v_add_co_u32 v18, vcc_lo, v90, v18
	s_delay_alu instid0(VALU_DEP_4)
	v_add_co_ci_u32_e32 v19, vcc_lo, v91, v19, vcc_lo
	s_clause 0x4
	global_store_b64 v[2:3], v[10:11], off
	global_store_b64 v[12:13], v[8:9], off
	;; [unrolled: 1-line block ×5, first 2 shown]
.LBB0_37:
	s_nop 0
	s_sendmsg sendmsg(MSG_DEALLOC_VGPRS)
	s_endpgm
	.section	.rodata,"a",@progbits
	.p2align	6, 0x0
	.amdhsa_kernel fft_rtc_back_len1728_factors_3_6_6_16_wgs_108_tpt_108_halfLds_sp_op_CI_CI_sbrr_dirReg
		.amdhsa_group_segment_fixed_size 0
		.amdhsa_private_segment_fixed_size 0
		.amdhsa_kernarg_size 104
		.amdhsa_user_sgpr_count 15
		.amdhsa_user_sgpr_dispatch_ptr 0
		.amdhsa_user_sgpr_queue_ptr 0
		.amdhsa_user_sgpr_kernarg_segment_ptr 1
		.amdhsa_user_sgpr_dispatch_id 0
		.amdhsa_user_sgpr_private_segment_size 0
		.amdhsa_wavefront_size32 1
		.amdhsa_uses_dynamic_stack 0
		.amdhsa_enable_private_segment 0
		.amdhsa_system_sgpr_workgroup_id_x 1
		.amdhsa_system_sgpr_workgroup_id_y 0
		.amdhsa_system_sgpr_workgroup_id_z 0
		.amdhsa_system_sgpr_workgroup_info 0
		.amdhsa_system_vgpr_workitem_id 0
		.amdhsa_next_free_vgpr 98
		.amdhsa_next_free_sgpr 31
		.amdhsa_reserve_vcc 1
		.amdhsa_float_round_mode_32 0
		.amdhsa_float_round_mode_16_64 0
		.amdhsa_float_denorm_mode_32 3
		.amdhsa_float_denorm_mode_16_64 3
		.amdhsa_dx10_clamp 1
		.amdhsa_ieee_mode 1
		.amdhsa_fp16_overflow 0
		.amdhsa_workgroup_processor_mode 1
		.amdhsa_memory_ordered 1
		.amdhsa_forward_progress 0
		.amdhsa_shared_vgpr_count 0
		.amdhsa_exception_fp_ieee_invalid_op 0
		.amdhsa_exception_fp_denorm_src 0
		.amdhsa_exception_fp_ieee_div_zero 0
		.amdhsa_exception_fp_ieee_overflow 0
		.amdhsa_exception_fp_ieee_underflow 0
		.amdhsa_exception_fp_ieee_inexact 0
		.amdhsa_exception_int_div_zero 0
	.end_amdhsa_kernel
	.text
.Lfunc_end0:
	.size	fft_rtc_back_len1728_factors_3_6_6_16_wgs_108_tpt_108_halfLds_sp_op_CI_CI_sbrr_dirReg, .Lfunc_end0-fft_rtc_back_len1728_factors_3_6_6_16_wgs_108_tpt_108_halfLds_sp_op_CI_CI_sbrr_dirReg
                                        ; -- End function
	.section	.AMDGPU.csdata,"",@progbits
; Kernel info:
; codeLenInByte = 10748
; NumSgprs: 33
; NumVgprs: 98
; ScratchSize: 0
; MemoryBound: 0
; FloatMode: 240
; IeeeMode: 1
; LDSByteSize: 0 bytes/workgroup (compile time only)
; SGPRBlocks: 4
; VGPRBlocks: 12
; NumSGPRsForWavesPerEU: 33
; NumVGPRsForWavesPerEU: 98
; Occupancy: 12
; WaveLimiterHint : 1
; COMPUTE_PGM_RSRC2:SCRATCH_EN: 0
; COMPUTE_PGM_RSRC2:USER_SGPR: 15
; COMPUTE_PGM_RSRC2:TRAP_HANDLER: 0
; COMPUTE_PGM_RSRC2:TGID_X_EN: 1
; COMPUTE_PGM_RSRC2:TGID_Y_EN: 0
; COMPUTE_PGM_RSRC2:TGID_Z_EN: 0
; COMPUTE_PGM_RSRC2:TIDIG_COMP_CNT: 0
	.text
	.p2alignl 7, 3214868480
	.fill 96, 4, 3214868480
	.type	__hip_cuid_d701711c6b7542fd,@object ; @__hip_cuid_d701711c6b7542fd
	.section	.bss,"aw",@nobits
	.globl	__hip_cuid_d701711c6b7542fd
__hip_cuid_d701711c6b7542fd:
	.byte	0                               ; 0x0
	.size	__hip_cuid_d701711c6b7542fd, 1

	.ident	"AMD clang version 19.0.0git (https://github.com/RadeonOpenCompute/llvm-project roc-6.4.0 25133 c7fe45cf4b819c5991fe208aaa96edf142730f1d)"
	.section	".note.GNU-stack","",@progbits
	.addrsig
	.addrsig_sym __hip_cuid_d701711c6b7542fd
	.amdgpu_metadata
---
amdhsa.kernels:
  - .args:
      - .actual_access:  read_only
        .address_space:  global
        .offset:         0
        .size:           8
        .value_kind:     global_buffer
      - .offset:         8
        .size:           8
        .value_kind:     by_value
      - .actual_access:  read_only
        .address_space:  global
        .offset:         16
        .size:           8
        .value_kind:     global_buffer
      - .actual_access:  read_only
        .address_space:  global
        .offset:         24
        .size:           8
        .value_kind:     global_buffer
      - .actual_access:  read_only
        .address_space:  global
        .offset:         32
        .size:           8
        .value_kind:     global_buffer
      - .offset:         40
        .size:           8
        .value_kind:     by_value
      - .actual_access:  read_only
        .address_space:  global
        .offset:         48
        .size:           8
        .value_kind:     global_buffer
      - .actual_access:  read_only
        .address_space:  global
        .offset:         56
        .size:           8
        .value_kind:     global_buffer
      - .offset:         64
        .size:           4
        .value_kind:     by_value
      - .actual_access:  read_only
        .address_space:  global
        .offset:         72
        .size:           8
        .value_kind:     global_buffer
      - .actual_access:  read_only
        .address_space:  global
        .offset:         80
        .size:           8
        .value_kind:     global_buffer
      - .actual_access:  read_only
        .address_space:  global
        .offset:         88
        .size:           8
        .value_kind:     global_buffer
      - .actual_access:  write_only
        .address_space:  global
        .offset:         96
        .size:           8
        .value_kind:     global_buffer
    .group_segment_fixed_size: 0
    .kernarg_segment_align: 8
    .kernarg_segment_size: 104
    .language:       OpenCL C
    .language_version:
      - 2
      - 0
    .max_flat_workgroup_size: 108
    .name:           fft_rtc_back_len1728_factors_3_6_6_16_wgs_108_tpt_108_halfLds_sp_op_CI_CI_sbrr_dirReg
    .private_segment_fixed_size: 0
    .sgpr_count:     33
    .sgpr_spill_count: 0
    .symbol:         fft_rtc_back_len1728_factors_3_6_6_16_wgs_108_tpt_108_halfLds_sp_op_CI_CI_sbrr_dirReg.kd
    .uniform_work_group_size: 1
    .uses_dynamic_stack: false
    .vgpr_count:     98
    .vgpr_spill_count: 0
    .wavefront_size: 32
    .workgroup_processor_mode: 1
amdhsa.target:   amdgcn-amd-amdhsa--gfx1100
amdhsa.version:
  - 1
  - 2
...

	.end_amdgpu_metadata
